;; amdgpu-corpus repo=ROCm/aiter kind=harvested arch=n/a opt=n/a

/root/src/amdgpu-assembly/repos/ROCm__aiter/hsa/gfx950/fmoe/gelu/fmoe_bf16_blockscaleFp8_g1u1_vs_gelu_1tg_ps_64x256.co:	file format elf64-amdgpu

Disassembly of section .text:

0000000000002e00 <_ZN5aiter40fmoe_bf16_blockscaleFp8_g1u1_gelu_64x256E>:
	v_lshrrev_b32_e32 v1, 10, v0                               // 000000002E00: 2002008A
	v_lshrrev_b32_e32 v2, 10, v1                               // 000000002E04: 2004028A
	v_and_b32_e32 v2, 0x3ff, v2                                // 000000002E08: 260404FF 000003FF
	v_and_b32_e32 v1, 0x3ff, v1                                // 000000002E10: 260202FF 000003FF
	v_and_b32_e32 v0, 0x3ff, v0                                // 000000002E18: 260000FF 000003FF
	v_lshrrev_b32_e32 v3, 6, v0                                // 000000002E20: 20060086
	v_and_b32_e32 v0, 63, v0                                   // 000000002E24: 260000BF
	s_mov_b32 s2, s2                                           // 000000002E28: BE820002
	s_mov_b32 s3, s3                                           // 000000002E2C: BE830003
	s_mov_b32 s4, s4                                           // 000000002E30: BE840004
	s_mov_b32 s100, s2                                         // 000000002E34: BEE40002
	v_readfirstlane_b32 s7, v3                                 // 000000002E38: 7E0E0503
	s_and_b32 s1, s1, 0xffff                                   // 000000002E3C: 8601FF01 0000FFFF
	s_mov_b32 s20, 0                                           // 000000002E44: BE940080
	s_mov_b32 s59, 0                                           // 000000002E48: BEBB0080
	s_mov_b32 s101, 0                                          // 000000002E4C: BEE50080
	s_load_dword s20, s[0:1], 0x1a0                            // 000000002E50: C0020500 000001A0
	s_load_dword s59, s[0:1], 0x1b0                            // 000000002E58: C0020EC0 000001B0
	s_waitcnt lgkmcnt(0)                                       // 000000002E60: BF8CC07F
	s_cmp_eq_u32 s20, 0                                        // 000000002E64: BF068014
	s_cbranch_scc1 label_0062                                  // 000000002E68: BF850047
	v_cvt_f32_u32_e32 v60, s59                                 // 000000002E6C: 7E780C3B
	s_sub_i32 s56, 0, s59                                      // 000000002E70: 81B83B80
	v_rcp_iflag_f32_e32 v60, v60                               // 000000002E74: 7E78473C
	s_nop 0                                                    // 000000002E78: BF800000
	v_mul_f32_e32 v60, 0x4f7ffffe, v60                         // 000000002E7C: 0A7878FF 4F7FFFFE
	v_cvt_u32_f32_e32 v60, v60                                 // 000000002E84: 7E780F3C
	v_mul_lo_u32 v61, s56, v60                                 // 000000002E88: D285003D 00027838
	v_mul_hi_u32 v61, v60, v61                                 // 000000002E90: D286003D 00027B3C
	v_add_u32_e32 v60, v60, v61                                // 000000002E98: 68787B3C
	v_mul_hi_u32 v60, s20, v60                                 // 000000002E9C: D286003C 00027814
	v_mul_lo_u32 v61, v60, s59                                 // 000000002EA4: D285003D 0000773C
	v_sub_u32_e32 v63, s20, v61                                // 000000002EAC: 6A7E7A14
	v_add_u32_e32 v62, 1, v60                                  // 000000002EB0: 687C7881
	v_cmp_le_u32_e32 vcc, s59, v63                             // 000000002EB4: 7D967E3B
	v_subrev_u32_e32 v61, s59, v63                             // 000000002EB8: 6C7A7E3B
	s_nop 0                                                    // 000000002EBC: BF800000
	v_cndmask_b32_e32 v60, v60, v62, vcc                       // 000000002EC0: 00787D3C
	v_cndmask_b32_e32 v63, v63, v61, vcc                       // 000000002EC4: 007E7B3F
	v_add_u32_e32 v61, 1, v60                                  // 000000002EC8: 687A7881
	v_cmp_le_u32_e32 vcc, s59, v63                             // 000000002ECC: 7D967E3B
	s_nop 1                                                    // 000000002ED0: BF800001
	v_cndmask_b32_e32 v63, v60, v61, vcc                       // 000000002ED4: 007E7B3C
	s_nop 3                                                    // 000000002ED8: BF800003
	v_readfirstlane_b32 s73, v63                               // 000000002EDC: 7E92053F
	s_nop 3                                                    // 000000002EE0: BF800003

0000000000002ee4 <label_0039>:
	s_mov_b32 s4, 1                                            // 000000002EE4: BE840081
	s_and_b32 s57, s100, 7                                     // 000000002EE8: 86398764
	s_lshr_b32 s58, s100, 3                                    // 000000002EEC: 8F3A8364
	s_mul_i32 s56, s73, s59                                    // 000000002EF0: 92383B49
	s_lshr_b32 s56, s56, 3                                     // 000000002EF4: 8F388338
	s_mul_i32 s57, s57, s56                                    // 000000002EF8: 92393839
	s_add_u32 s58, s57, s58                                    // 000000002EFC: 803A3A39
	v_cvt_f32_u32_e32 v60, s59                                 // 000000002F00: 7E780C3B
	s_sub_i32 s56, 0, s59                                      // 000000002F04: 81B83B80
	v_rcp_iflag_f32_e32 v60, v60                               // 000000002F08: 7E78473C
	s_nop 0                                                    // 000000002F0C: BF800000
	v_mul_f32_e32 v60, 0x4f7ffffe, v60                         // 000000002F10: 0A7878FF 4F7FFFFE
	v_cvt_u32_f32_e32 v60, v60                                 // 000000002F18: 7E780F3C
	v_mul_lo_u32 v61, s56, v60                                 // 000000002F1C: D285003D 00027838
	v_mul_hi_u32 v61, v60, v61                                 // 000000002F24: D286003D 00027B3C
	v_add_u32_e32 v60, v60, v61                                // 000000002F2C: 68787B3C
	v_mul_hi_u32 v60, s58, v60                                 // 000000002F30: D286003C 0002783A
	v_mul_lo_u32 v61, v60, s59                                 // 000000002F38: D285003D 0000773C
	v_sub_u32_e32 v63, s58, v61                                // 000000002F40: 6A7E7A3A
	v_add_u32_e32 v62, 1, v60                                  // 000000002F44: 687C7881
	v_cmp_le_u32_e32 vcc, s59, v63                             // 000000002F48: 7D967E3B
	v_subrev_u32_e32 v61, s59, v63                             // 000000002F4C: 6C7A7E3B
	s_nop 0                                                    // 000000002F50: BF800000
	v_cndmask_b32_e32 v60, v60, v62, vcc                       // 000000002F54: 00787D3C
	v_cndmask_b32_e32 v63, v63, v61, vcc                       // 000000002F58: 007E7B3F
	v_add_u32_e32 v61, 1, v60                                  // 000000002F5C: 687A7881
	v_cmp_le_u32_e32 vcc, s59, v63                             // 000000002F60: 7D967E3B
	s_nop 1                                                    // 000000002F64: BF800001
	v_cndmask_b32_e32 v63, v60, v61, vcc                       // 000000002F68: 007E7B3C
	s_nop 3                                                    // 000000002F6C: BF800003
	v_readfirstlane_b32 s3, v63                                // 000000002F70: 7E06053F
	s_nop 3                                                    // 000000002F74: BF800003
	s_mul_i32 s56, s3, s59                                     // 000000002F78: 92383B03
	s_sub_u32 s2, s58, s56                                     // 000000002F7C: 8082383A
	s_mul_i32 s56, s73, s101                                   // 000000002F80: 92386549
	s_add_i32 s3, s3, s56                                      // 000000002F84: 81033803

0000000000002f88 <label_0062>:
	s_and_b32 s1, s1, 0xffff                                   // 000000002F88: 8601FF01 0000FFFF
	s_load_dwordx2 s[8:9], s[0:1], 0x0                         // 000000002F90: C0060200 00000000
	s_load_dwordx2 s[20:21], s[0:1], 0x10                      // 000000002F98: C0060500 00000010
	s_load_dwordx2 s[24:25], s[0:1], 0x20                      // 000000002FA0: C0060600 00000020
	s_load_dwordx2 s[50:51], s[0:1], 0x30                      // 000000002FA8: C0060C80 00000030
	s_load_dwordx2 s[12:13], s[0:1], 0x40                      // 000000002FB0: C0060300 00000040
	s_load_dwordx2 s[28:29], s[0:1], 0x50                      // 000000002FB8: C0060700 00000050
	s_load_dwordx2 s[32:33], s[0:1], 0x60                      // 000000002FC0: C0060800 00000060
	s_load_dwordx2 s[16:17], s[0:1], 0x70                      // 000000002FC8: C0060400 00000070
	s_load_dwordx2 s[36:37], s[0:1], 0x80                      // 000000002FD0: C0060900 00000080
	s_load_dwordx2 s[44:45], s[0:1], 0x90                      // 000000002FD8: C0060B00 00000090
	s_load_dwordx2 s[40:41], s[0:1], 0xa0                      // 000000002FE0: C0060A00 000000A0
	s_load_dwordx2 s[46:47], s[0:1], 0xb0                      // 000000002FE8: C0060B80 000000B0
	s_load_dword s60, s[0:1], 0xc0                             // 000000002FF0: C0020F00 000000C0
	s_load_dword s61, s[0:1], 0xd0                             // 000000002FF8: C0020F40 000000D0
	s_load_dword s63, s[0:1], 0xf0                             // 000000003000: C0020FC0 000000F0
	s_load_dword s64, s[0:1], 0x100                            // 000000003008: C0021000 00000100
	s_load_dword s65, s[0:1], 0x110                            // 000000003010: C0021040 00000110
	s_load_dword s66, s[0:1], 0x120                            // 000000003018: C0021080 00000120
	s_load_dword s67, s[0:1], 0x130                            // 000000003020: C00210C0 00000130
	s_load_dword s68, s[0:1], 0x140                            // 000000003028: C0021100 00000140
	s_load_dword s69, s[0:1], 0x150                            // 000000003030: C0021140 00000150
	s_load_dword s70, s[0:1], 0x160                            // 000000003038: C0021180 00000160
	s_load_dword s71, s[0:1], 0x170                            // 000000003040: C00211C0 00000170
	s_load_dword s72, s[0:1], 0x180                            // 000000003048: C0021200 00000180
	s_mov_b32 s2, s2                                           // 000000003050: BE820002
	s_mov_b32 s3, s3                                           // 000000003054: BE830003
	s_mov_b32 s4, s4                                           // 000000003058: BE840004
	s_waitcnt lgkmcnt(0)                                       // 00000000305C: BF8CC07F
	s_and_b32 s51, s51, 0xffff                                 // 000000003060: 8633FF33 0000FFFF
	s_load_dword s62, s[50:51], 0x4                            // 000000003068: C0020F99 00000004
	s_load_dword s50, s[50:51], 0x0                            // 000000003070: C0020C99 00000000
	s_waitcnt lgkmcnt(0)                                       // 000000003078: BF8CC07F
	s_and_b32 s45, s45, 0xffff                                 // 00000000307C: 862DFF2D 0000FFFF
	s_and_b32 s47, s47, 0xffff                                 // 000000003084: 862FFF2F 0000FFFF
	s_and_b32 s9, s9, 0xffff                                   // 00000000308C: 8609FF09 0000FFFF
	s_mul_i32 s56, s62, s64                                    // 000000003094: 9238403E
	s_mul_i32 s57, s62, 4                                      // 000000003098: 9239843E
	s_mov_b32 s22, s56                                         // 00000000309C: BE960038
	s_mov_b32 s26, -16                                         // 0000000030A0: BE9A00D0
	s_mov_b32 s14, -16                                         // 0000000030A4: BE8E00D0
	s_mov_b32 s42, -16                                         // 0000000030A8: BEAA00D0
	s_mov_b32 s30, -16                                         // 0000000030AC: BE9E00D0
	s_mov_b32 s34, -16                                         // 0000000030B0: BEA200D0
	s_mov_b32 s38, -16                                         // 0000000030B4: BEA600D0
	s_mov_b32 s18, -16                                         // 0000000030B8: BE9200D0
	s_mul_i32 s56, s62, s67                                    // 0000000030BC: 9238433E
	s_mov_b32 s10, s56                                         // 0000000030C0: BE8A0038
	s_mov_b32 s23, 0x20000                                     // 0000000030C4: BE9700FF 00020000
	s_mov_b32 s27, 0x20000                                     // 0000000030CC: BE9B00FF 00020000
	s_mov_b32 s15, 0x20000                                     // 0000000030D4: BE8F00FF 00020000
	s_mov_b32 s43, 0x20000                                     // 0000000030DC: BEAB00FF 00020000
	s_mov_b32 s31, 0x20000                                     // 0000000030E4: BE9F00FF 00020000
	s_mov_b32 s35, 0x20000                                     // 0000000030EC: BEA300FF 00020000
	s_mov_b32 s39, 0x20000                                     // 0000000030F4: BEA700FF 00020000
	s_mov_b32 s19, 0x20000                                     // 0000000030FC: BE9300FF 00020000
	s_mov_b32 s11, 0x20000                                     // 000000003104: BE8B00FF 00020000
	s_and_b32 s21, s21, 0xffff                                 // 00000000310C: 8615FF15 0000FFFF
	s_and_b32 s25, s25, 0xffff                                 // 000000003114: 8619FF19 0000FFFF
	s_and_b32 s13, s13, 0xffff                                 // 00000000311C: 860DFF0D 0000FFFF
	s_and_b32 s41, s41, 0xffff                                 // 000000003124: 8629FF29 0000FFFF
	s_and_b32 s29, s29, 0xffff                                 // 00000000312C: 861DFF1D 0000FFFF
	s_and_b32 s33, s33, 0xffff                                 // 000000003134: 8621FF21 0000FFFF
	s_and_b32 s37, s37, 0xffff                                 // 00000000313C: 8625FF25 0000FFFF
	s_and_b32 s17, s17, 0xffff                                 // 000000003144: 8611FF11 0000FFFF
	s_or_b32 s21, s21, 0x40000                                 // 00000000314C: 8715FF15 00040000
	s_or_b32 s25, s25, 0x40000                                 // 000000003154: 8719FF19 00040000
	s_or_b32 s13, s13, 0x40000                                 // 00000000315C: 870DFF0D 00040000
	s_or_b32 s41, s41, 0x40000                                 // 000000003164: 8729FF29 00040000
	s_or_b32 s29, s29, 0x40000                                 // 00000000316C: 871DFF1D 00040000
	s_or_b32 s33, s33, 0x40000                                 // 000000003174: 8721FF21 00040000
	s_or_b32 s37, s37, 0x40000                                 // 00000000317C: 8725FF25 00040000
	s_or_b32 s17, s17, 0x40000                                 // 000000003184: 8711FF11 00040000
	v_accvgpr_write_b32 a255, 0                                // 00000000318C: D3D940FF 18000080
	v_mov_b32_e32 v255, 0                                      // 000000003194: 7FFE0280
	s_waitcnt lgkmcnt(0)                                       // 000000003198: BF8CC07F
	s_mul_i32 s56, s3, 64                                      // 00000000319C: 9238C003
	s_cmp_lt_i32 s56, s50                                      // 0000000031A0: BF043238
	s_cbranch_scc0 label_2518                                  // 0000000031A4: BF84242E
	s_mov_b32 s76, 0                                           // 0000000031A8: BECC0080
	s_mov_b32 s77, s60                                         // 0000000031AC: BECD003C
	s_mul_i32 s56, s3, 4                                       // 0000000031B0: 92388403
	s_add_u32 s46, s56, s46                                    // 0000000031B4: 802E2E38
	s_addc_u32 s47, 0, s47                                     // 0000000031B8: 822F2F80
	s_load_dword s5, s[46:47], 0x0                             // 0000000031BC: C0020157 00000000
	s_mul_i32 s56, s3, 64                                      // 0000000031C4: 9238C003
	s_mul_i32 s56, 4, s56                                      // 0000000031C8: 92383884
	v_and_b32_e32 v60, 15, v0                                  // 0000000031CC: 2678008F
	v_lshlrev_b32_e32 v60, 2, v60                              // 0000000031D0: 24787882
	v_add_u32_e32 v60, s56, v60                                // 0000000031D4: 68787838
	v_mov_b32_e32 v61, 0                                       // 0000000031D8: 7E7A0280
	global_load_dword v9, v60, s[44:45]                        // 0000000031DC: DC508000 092C003C
	v_add_u32_e32 v60, 64, v60                                 // 0000000031E4: 687878C0
	global_load_dword v10, v60, s[44:45]                       // 0000000031E8: DC508000 0A2C003C
	v_add_u32_e32 v60, 64, v60                                 // 0000000031F0: 687878C0
	global_load_dword v11, v60, s[44:45]                       // 0000000031F4: DC508000 0B2C003C
	v_add_u32_e32 v60, 64, v60                                 // 0000000031FC: 687878C0
	global_load_dword v12, v60, s[44:45]                       // 000000003200: DC508000 0C2C003C
	s_mul_i32 s56, s3, 64                                      // 000000003208: 9238C003
	s_lshr_b32 s57, s7, 1                                      // 00000000320C: 8F398107
	s_mul_i32 s57, s57, 8                                      // 000000003210: 92398839
	s_add_u32 s56, s57, s56                                    // 000000003214: 80383839
	s_and_b32 s57, s7, 1                                       // 000000003218: 86398107
	s_mul_i32 s57, s57, 2                                      // 00000000321C: 92398239
	s_add_u32 s56, s57, s56                                    // 000000003220: 80383839
	s_mul_i32 s56, 4, s56                                      // 000000003224: 92383884
	s_add_u32 s44, s56, s44                                    // 000000003228: 802C2C38
	s_addc_u32 s45, 0, s45                                     // 00000000322C: 822D2D80
	s_load_dword s78, s[44:45], 0x0                            // 000000003230: C0021396 00000000
	s_load_dword s79, s[44:45], 0x4                            // 000000003238: C00213D6 00000004
	s_load_dword s80, s[44:45], 0x10                           // 000000003240: C0021416 00000010
	s_load_dword s81, s[44:45], 0x14                           // 000000003248: C0021456 00000014
	s_load_dword s82, s[44:45], 0x40                           // 000000003250: C0021496 00000040
	s_load_dword s83, s[44:45], 0x44                           // 000000003258: C00214D6 00000044
	s_load_dword s84, s[44:45], 0x50                           // 000000003260: C0021516 00000050
	s_load_dword s85, s[44:45], 0x54                           // 000000003268: C0021556 00000054
	s_load_dword s86, s[44:45], 0x80                           // 000000003270: C0021596 00000080
	s_load_dword s87, s[44:45], 0x84                           // 000000003278: C00215D6 00000084
	s_load_dword s88, s[44:45], 0x90                           // 000000003280: C0021616 00000090
	s_load_dword s89, s[44:45], 0x94                           // 000000003288: C0021656 00000094
	s_load_dword s90, s[44:45], 0xc0                           // 000000003290: C0021696 000000C0
	s_load_dword s91, s[44:45], 0xc4                           // 000000003298: C00216D6 000000C4
	s_load_dword s92, s[44:45], 0xd0                           // 0000000032A0: C0021716 000000D0
	s_load_dword s93, s[44:45], 0xd4                           // 0000000032A8: C0021756 000000D4
	s_waitcnt lgkmcnt(0)                                       // 0000000032B0: BF8CC07F
	s_and_b32 s78, s78, 0xffffff                               // 0000000032B4: 864EFF4E 00FFFFFF
	s_mul_i32 s58, s78, s64                                    // 0000000032BC: 923A404E
	s_lshl_b32 s56, 0xff, 0                                    // 0000000032C0: 8E3880FF 000000FF
	s_mov_b32 s57, 0                                           // 0000000032C8: BEB90080
	s_mov_b64 exec, s[56:57]                                   // 0000000032CC: BEFE0138
	v_mov_b32_e32 v43, s58                                     // 0000000032D0: 7E56023A
	s_and_b32 s86, s86, 0xffffff                               // 0000000032D4: 8656FF56 00FFFFFF
	s_mul_i32 s58, s86, s64                                    // 0000000032DC: 923A4056
	v_mov_b32_e32 v45, s58                                     // 0000000032E0: 7E5A023A
	s_and_b32 s79, s79, 0xffffff                               // 0000000032E4: 864FFF4F 00FFFFFF
	s_mul_i32 s58, s79, s64                                    // 0000000032EC: 923A404F
	s_lshl_b32 s56, 0xff, 8                                    // 0000000032F0: 8E3888FF 000000FF
	s_mov_b64 exec, s[56:57]                                   // 0000000032F8: BEFE0138
	v_mov_b32_e32 v43, s58                                     // 0000000032FC: 7E56023A
	s_and_b32 s87, s87, 0xffffff                               // 000000003300: 8657FF57 00FFFFFF
	s_mul_i32 s58, s87, s64                                    // 000000003308: 923A4057
	v_mov_b32_e32 v45, s58                                     // 00000000330C: 7E5A023A
	s_and_b32 s80, s80, 0xffffff                               // 000000003310: 8650FF50 00FFFFFF
	s_mul_i32 s58, s80, s64                                    // 000000003318: 923A4050
	s_lshl_b32 s56, 0xff, 16                                   // 00000000331C: 8E3890FF 000000FF
	s_mov_b64 exec, s[56:57]                                   // 000000003324: BEFE0138
	v_mov_b32_e32 v43, s58                                     // 000000003328: 7E56023A
	s_and_b32 s88, s88, 0xffffff                               // 00000000332C: 8658FF58 00FFFFFF
	s_mul_i32 s58, s88, s64                                    // 000000003334: 923A4058
	v_mov_b32_e32 v45, s58                                     // 000000003338: 7E5A023A
	s_and_b32 s81, s81, 0xffffff                               // 00000000333C: 8651FF51 00FFFFFF
	s_mul_i32 s58, s81, s64                                    // 000000003344: 923A4051
	s_lshl_b32 s56, 0xff, 24                                   // 000000003348: 8E3898FF 000000FF
	s_mov_b64 exec, s[56:57]                                   // 000000003350: BEFE0138
	v_mov_b32_e32 v43, s58                                     // 000000003354: 7E56023A
	s_and_b32 s89, s89, 0xffffff                               // 000000003358: 8659FF59 00FFFFFF
	s_mul_i32 s58, s89, s64                                    // 000000003360: 923A4059
	v_mov_b32_e32 v45, s58                                     // 000000003364: 7E5A023A
	s_and_b32 s82, s82, 0xffffff                               // 000000003368: 8652FF52 00FFFFFF
	s_mul_i32 s58, s82, s64                                    // 000000003370: 923A4052
	s_lshl_b32 s57, 0xff, 0                                    // 000000003374: 8E3980FF 000000FF
	s_mov_b32 s56, 0                                           // 00000000337C: BEB80080
	s_mov_b64 exec, s[56:57]                                   // 000000003380: BEFE0138
	v_mov_b32_e32 v43, s58                                     // 000000003384: 7E56023A
	s_and_b32 s90, s90, 0xffffff                               // 000000003388: 865AFF5A 00FFFFFF
	s_mul_i32 s58, s90, s64                                    // 000000003390: 923A405A
	v_mov_b32_e32 v45, s58                                     // 000000003394: 7E5A023A
	s_and_b32 s83, s83, 0xffffff                               // 000000003398: 8653FF53 00FFFFFF
	s_mul_i32 s58, s83, s64                                    // 0000000033A0: 923A4053
	s_lshl_b32 s57, 0xff, 8                                    // 0000000033A4: 8E3988FF 000000FF
	s_mov_b64 exec, s[56:57]                                   // 0000000033AC: BEFE0138
	v_mov_b32_e32 v43, s58                                     // 0000000033B0: 7E56023A
	s_and_b32 s91, s91, 0xffffff                               // 0000000033B4: 865BFF5B 00FFFFFF
	s_mul_i32 s58, s91, s64                                    // 0000000033BC: 923A405B
	v_mov_b32_e32 v45, s58                                     // 0000000033C0: 7E5A023A
	s_and_b32 s84, s84, 0xffffff                               // 0000000033C4: 8654FF54 00FFFFFF
	s_mul_i32 s58, s84, s64                                    // 0000000033CC: 923A4054
	s_lshl_b32 s57, 0xff, 16                                   // 0000000033D0: 8E3990FF 000000FF
	s_mov_b64 exec, s[56:57]                                   // 0000000033D8: BEFE0138
	v_mov_b32_e32 v43, s58                                     // 0000000033DC: 7E56023A
	s_and_b32 s92, s92, 0xffffff                               // 0000000033E0: 865CFF5C 00FFFFFF
	s_mul_i32 s58, s92, s64                                    // 0000000033E8: 923A405C
	v_mov_b32_e32 v45, s58                                     // 0000000033EC: 7E5A023A
	s_and_b32 s85, s85, 0xffffff                               // 0000000033F0: 8655FF55 00FFFFFF
	s_mul_i32 s58, s85, s64                                    // 0000000033F8: 923A4055
	s_lshl_b32 s57, 0xff, 24                                   // 0000000033FC: 8E3998FF 000000FF
	s_mov_b64 exec, s[56:57]                                   // 000000003404: BEFE0138
	v_mov_b32_e32 v43, s58                                     // 000000003408: 7E56023A
	s_and_b32 s93, s93, 0xffffff                               // 00000000340C: 865DFF5D 00FFFFFF
	s_mul_i32 s58, s93, s64                                    // 000000003414: 923A405D
	v_mov_b32_e32 v45, s58                                     // 000000003418: 7E5A023A
	s_mov_b32 s56, -1                                          // 00000000341C: BEB800C1
	s_mov_b32 s57, -1                                          // 000000003420: BEB900C1
	s_mov_b64 exec, s[56:57]                                   // 000000003424: BEFE0138
	v_and_b32_e64 v60, v0, 7                                   // 000000003428: D113003C 00010F00
	v_lshlrev_b32_e32 v60, 4, v60                              // 000000003430: 24787884
	s_mov_b32 s58, 0x80                                        // 000000003434: BEBA00FF 00000080
	v_add_u32_e32 v43, v43, v60                                // 00000000343C: 6856792B
	v_add_u32_e64 v44, v43, s58                                // 000000003440: D134002C 0000752B
	v_add_u32_e32 v45, v45, v60                                // 000000003448: 685A792D
	v_add_u32_e64 v46, v45, s58                                // 00000000344C: D134002E 0000752D
	v_add_u32_e32 v47, v47, v60                                // 000000003454: 685E792F
	v_add_u32_e64 v48, v47, s58                                // 000000003458: D1340030 0000752F
	v_add_u32_e32 v49, v49, v60                                // 000000003460: 68627931
	v_add_u32_e64 v50, v49, s58                                // 000000003464: D1340032 00007531
	v_add_u32_e32 v51, v51, v60                                // 00000000346C: 68667933
	v_add_u32_e64 v52, v51, s58                                // 000000003470: D1340034 00007533
	v_add_u32_e32 v53, v53, v60                                // 000000003478: 686A7935
	v_add_u32_e64 v54, v53, s58                                // 00000000347C: D1340036 00007535
	v_add_u32_e32 v55, v55, v60                                // 000000003484: 686E7937
	v_add_u32_e64 v56, v55, s58                                // 000000003488: D1340038 00007537
	v_add_u32_e32 v57, v57, v60                                // 000000003490: 68727939
	v_add_u32_e64 v58, v57, s58                                // 000000003494: D134003A 00007539
	v_add_u32_e32 v59, v59, v60                                // 00000000349C: 6876793B
	v_add_u32_e64 v60, v59, s58                                // 0000000034A0: D134003C 0000753B
	v_add_u32_e32 v61, v61, v60                                // 0000000034A8: 687A793D
	v_add_u32_e64 v62, v61, s58                                // 0000000034AC: D134003E 0000753D
	v_add_u32_e32 v63, v63, v60                                // 0000000034B4: 687E793F
	v_add_u32_e64 v64, v63, s58                                // 0000000034B8: D1340040 0000753F
	v_add_u32_e32 v65, v65, v60                                // 0000000034C0: 68827941
	v_add_u32_e64 v66, v65, s58                                // 0000000034C4: D1340042 00007541
	v_add_u32_e32 v67, v67, v60                                // 0000000034CC: 68867943
	v_add_u32_e64 v68, v67, s58                                // 0000000034D0: D1340044 00007543
	v_add_u32_e32 v69, v69, v60                                // 0000000034D8: 688A7945
	v_add_u32_e64 v70, v69, s58                                // 0000000034DC: D1340046 00007545
	v_add_u32_e32 v71, v71, v60                                // 0000000034E4: 688E7947
	v_add_u32_e64 v72, v71, s58                                // 0000000034E8: D1340048 00007547
	v_add_u32_e32 v73, v73, v60                                // 0000000034F0: 68927949
	v_add_u32_e64 v74, v73, s58                                // 0000000034F4: D134004A 00007549
	v_add_u32_e32 v75, v75, v60                                // 0000000034FC: 6896794B
	v_add_u32_e64 v76, v75, s58                                // 000000003500: D134004C 0000754B
	v_add_u32_e32 v77, v77, v60                                // 000000003508: 689A794D
	v_add_u32_e64 v78, v77, s58                                // 00000000350C: D134004E 0000754D
	v_add_u32_e32 v79, v79, v60                                // 000000003514: 689E794F
	v_add_u32_e64 v80, v79, s58                                // 000000003518: D1340050 0000754F
	v_add_u32_e32 v81, v81, v60                                // 000000003520: 68A27951
	v_add_u32_e64 v82, v81, s58                                // 000000003524: D1340052 00007551
	v_add_u32_e32 v83, v83, v60                                // 00000000352C: 68A67953
	v_add_u32_e64 v84, v83, s58                                // 000000003530: D1340054 00007553
	v_add_u32_e32 v85, v85, v60                                // 000000003538: 68AA7955
	v_add_u32_e64 v86, v85, s58                                // 00000000353C: D1340056 00007555
	v_add_u32_e32 v87, v87, v60                                // 000000003544: 68AE7957
	v_add_u32_e64 v88, v87, s58                                // 000000003548: D1340058 00007557
	v_add_u32_e32 v89, v89, v60                                // 000000003550: 68B27959
	v_add_u32_e64 v90, v89, s58                                // 000000003554: D134005A 00007559
	v_add_u32_e32 v91, v91, v60                                // 00000000355C: 68B6795B
	v_add_u32_e64 v92, v91, s58                                // 000000003560: D134005C 0000755B
	v_add_u32_e32 v93, v93, v60                                // 000000003568: 68BA795D
	v_add_u32_e64 v94, v93, s58                                // 00000000356C: D134005E 0000755D
	v_add_u32_e32 v95, v95, v60                                // 000000003574: 68BE795F
	v_add_u32_e64 v96, v95, s58                                // 000000003578: D1340060 0000755F
	v_add_u32_e32 v97, v97, v60                                // 000000003580: 68C27961
	v_add_u32_e64 v98, v97, s58                                // 000000003584: D1340062 00007561
	v_add_u32_e32 v99, v99, v60                                // 00000000358C: 68C67963
	v_add_u32_e64 v100, v99, s58                               // 000000003590: D1340064 00007563
	v_add_u32_e32 v101, v101, v60                              // 000000003598: 68CA7965
	v_add_u32_e64 v102, v101, s58                              // 00000000359C: D1340066 00007565
	v_add_u32_e32 v103, v103, v60                              // 0000000035A4: 68CE7967
	v_add_u32_e64 v104, v103, s58                              // 0000000035A8: D1340068 00007567
	v_add_u32_e32 v105, v105, v60                              // 0000000035B0: 68D27969
	v_add_u32_e64 v106, v105, s58                              // 0000000035B4: D134006A 00007569
	v_lshlrev_b32_e32 v60, 2, v0                               // 0000000035BC: 24780082
	s_mul_i32 s56, s78, s67                                    // 0000000035C0: 9238434E
	v_add_u32_e64 v96, v60, s56                                // 0000000035C4: D1340060 0000713C
	v_mov_b32_e32 v97, 0                                       // 0000000035CC: 7EC20280
	s_mul_i32 s56, s79, s67                                    // 0000000035D0: 9238434F
	v_add_u32_e64 v98, v60, s56                                // 0000000035D4: D1340062 0000713C
	v_mov_b32_e32 v99, 0                                       // 0000000035DC: 7EC60280
	s_mul_i32 s56, s80, s67                                    // 0000000035E0: 92384350
	v_add_u32_e64 v100, v60, s56                               // 0000000035E4: D1340064 0000713C
	v_mov_b32_e32 v101, 0                                      // 0000000035EC: 7ECA0280
	s_mul_i32 s56, s81, s67                                    // 0000000035F0: 92384351
	v_add_u32_e64 v102, v60, s56                               // 0000000035F4: D1340066 0000713C
	v_mov_b32_e32 v103, 0                                      // 0000000035FC: 7ECE0280
	s_mul_i32 s56, s82, s67                                    // 000000003600: 92384352
	v_add_u32_e64 v104, v60, s56                               // 000000003604: D1340068 0000713C
	v_mov_b32_e32 v105, 0                                      // 00000000360C: 7ED20280
	s_mul_i32 s56, s83, s67                                    // 000000003610: 92384353
	v_add_u32_e64 v106, v60, s56                               // 000000003614: D134006A 0000713C
	v_mov_b32_e32 v107, 0                                      // 00000000361C: 7ED60280
	s_mul_i32 s56, s84, s67                                    // 000000003620: 92384354
	v_add_u32_e64 v108, v60, s56                               // 000000003624: D134006C 0000713C
	v_mov_b32_e32 v109, 0                                      // 00000000362C: 7EDA0280
	s_mul_i32 s56, s85, s67                                    // 000000003630: 92384355
	v_add_u32_e64 v110, v60, s56                               // 000000003634: D134006E 0000713C
	v_mov_b32_e32 v111, 0                                      // 00000000363C: 7EDE0280
	s_mul_i32 s56, s86, s67                                    // 000000003640: 92384356
	v_add_u32_e64 v112, v60, s56                               // 000000003644: D1340070 0000713C
	v_mov_b32_e32 v113, 0                                      // 00000000364C: 7EE20280
	s_mul_i32 s56, s87, s67                                    // 000000003650: 92384357
	v_add_u32_e64 v114, v60, s56                               // 000000003654: D1340072 0000713C
	v_mov_b32_e32 v115, 0                                      // 00000000365C: 7EE60280
	s_mul_i32 s56, s88, s67                                    // 000000003660: 92384358
	v_add_u32_e64 v116, v60, s56                               // 000000003664: D1340074 0000713C
	v_mov_b32_e32 v117, 0                                      // 00000000366C: 7EEA0280
	s_mul_i32 s56, s89, s67                                    // 000000003670: 92384359
	v_add_u32_e64 v118, v60, s56                               // 000000003674: D1340076 0000713C
	v_mov_b32_e32 v119, 0                                      // 00000000367C: 7EEE0280
	s_mul_i32 s56, s90, s67                                    // 000000003680: 9238435A
	v_add_u32_e64 v120, v60, s56                               // 000000003684: D1340078 0000713C
	v_mov_b32_e32 v121, 0                                      // 00000000368C: 7EF20280
	s_mul_i32 s56, s91, s67                                    // 000000003690: 9238435B
	v_add_u32_e64 v122, v60, s56                               // 000000003694: D134007A 0000713C
	v_mov_b32_e32 v123, 0                                      // 00000000369C: 7EF60280
	s_mul_i32 s56, s92, s67                                    // 0000000036A0: 9238435C
	v_add_u32_e64 v124, v60, s56                               // 0000000036A4: D134007C 0000713C
	v_mov_b32_e32 v125, 0                                      // 0000000036AC: 7EFA0280
	s_mul_i32 s56, s93, s67                                    // 0000000036B0: 9238435D
	v_add_u32_e64 v126, v60, s56                               // 0000000036B4: D134007E 0000713C
	v_mov_b32_e32 v127, 0                                      // 0000000036BC: 7EFE0280
	s_mul_i32 s56, s7, 0x420                                   // 0000000036C0: 9238FF07 00000420
	s_add_u32 s48, 0, s56                                      // 0000000036C8: 80303880
	s_add_u32 s49, 0x2500, s48                                 // 0000000036CC: 803130FF 00002500
	s_add_u32 s50, 0x4a00, s56                                 // 0000000036D4: 803238FF 00004A00
	s_add_u32 s51, 0x2500, s50                                 // 0000000036DC: 803332FF 00002500
	v_and_b32_e32 v60, 15, v0                                  // 0000000036E4: 2678008F
	v_lshrrev_b32_e32 v61, 3, v60                              // 0000000036E8: 207A7883
	v_mul_lo_u32 v61, 2, v61                                   // 0000000036EC: D285003D 00027A82
	v_and_b32_e32 v60, 3, v0                                   // 0000000036F4: 26780083
	v_lshrrev_b32_e32 v62, 1, v60                              // 0000000036F8: 207C7881
	v_add_u32_e32 v60, v61, v62                                // 0000000036FC: 68787D3D
	v_mul_i32_i24_e32 v2, 0x420, v60                           // 000000003700: 0C0478FF 00000420
	v_and_b32_e32 v60, 7, v0                                   // 000000003708: 26780087
	v_lshrrev_b32_e32 v61, 2, v60                              // 00000000370C: 207A7882
	v_mul_i32_i24_e32 v61, 0x100, v61                          // 000000003710: 0C7A7AFF 00000100
	v_and_b32_e32 v60, 1, v0                                   // 000000003718: 26780081
	v_mul_i32_i24_e32 v62, 0x80, v60                           // 00000000371C: 0C7C78FF 00000080
	v_add_u32_e32 v2, v61, v2                                  // 000000003724: 6804053D
	v_add_u32_e32 v2, v62, v2                                  // 000000003728: 6804053E
	v_lshrrev_b32_e32 v60, 4, v0                               // 00000000372C: 20780084
	v_mul_lo_u32 v60, 16, v60                                  // 000000003730: D285003C 00027890
	v_add_u32_e32 v2, v60, v2                                  // 000000003738: 6804053C
	s_mul_i32 s56, s2, 0x100                                   // 00000000373C: 9238FF02 00000100
	s_mul_i32 s56, s56, s65                                    // 000000003744: 92384138
	s_mul_i32 s57, s5, s68                                     // 000000003748: 92394405
	s_add_u32 s56, s57, s56                                    // 00000000374C: 80383839
	s_add_u32 s24, s56, s24                                    // 000000003750: 80181838
	s_addc_u32 s25, 0, s25                                     // 000000003754: 82191980
	s_mul_i32 s56, s7, 16                                      // 000000003758: 92389007
	s_mul_i32 s56, s56, s65                                    // 00000000375C: 92384138
	v_lshlrev_b32_e32 v47, 4, v0                               // 000000003760: 245E0084
	v_add_u32_e32 v47, s56, v47                                // 000000003764: 685E5E38
	s_mul_i32 s56, 64, s65                                     // 000000003768: 923841C0
	v_add_u32_e32 v48, s56, v47                                // 00000000376C: 68605E38
	v_add_u32_e32 v49, s56, v48                                // 000000003770: 68626038
	v_add_u32_e32 v50, s56, v49                                // 000000003774: 68646238
	s_mov_b32 s96, s24                                         // 000000003778: BEE00018
	s_mov_b32 s97, s25                                         // 00000000377C: BEE10019
	s_mov_b32 s98, s26                                         // 000000003780: BEE2001A
	s_mov_b32 s99, s27                                         // 000000003784: BEE3001B
	s_mul_i32 s56, s65, s61                                    // 000000003788: 92383D41
	s_add_u32 s96, s56, s96                                    // 00000000378C: 80606038
	s_addc_u32 s97, 0, s97                                     // 000000003790: 82616180
	s_mul_i32 s56, s2, 0x1000                                  // 000000003794: 9238FF02 00001000
	s_mul_i32 s57, s5, s69                                     // 00000000379C: 92394505
	s_add_u32 s56, s57, s56                                    // 0000000037A0: 80383839
	s_add_u32 s12, s56, s12                                    // 0000000037A4: 800C0C38
	s_addc_u32 s13, 0, s13                                     // 0000000037A8: 820D0D80
	s_mul_i32 s56, s7, 16                                      // 0000000037AC: 92389007
	s_mul_i32 s56, s56, s66                                    // 0000000037B0: 92384238
	v_lshlrev_b32_e32 v51, 4, v0                               // 0000000037B4: 24660084
	v_add_u32_e32 v51, s56, v51                                // 0000000037B8: 68666638
	s_mul_i32 s56, 64, s66                                     // 0000000037BC: 923842C0
	v_add_u32_e32 v52, s56, v51                                // 0000000037C0: 68686638
	v_add_u32_e32 v53, s56, v52                                // 0000000037C4: 686A6838
	v_add_u32_e32 v54, s56, v53                                // 0000000037C8: 686C6A38
	s_mul_i32 s56, s66, 0x100                                  // 0000000037CC: 9238FF42 00000100
	s_mov_b32 s74, 0x800                                       // 0000000037D4: BECA00FF 00000800
	s_mul_i32 s57, s74, 1                                      // 0000000037DC: 9239814A
	s_sub_u32 s52, s56, s57                                    // 0000000037E0: 80B43938
	s_mul_i32 s56, s3, 64                                      // 0000000037E4: 9238C003
	s_mul_i32 s56, 4, s56                                      // 0000000037E8: 92383884
	s_add_u32 s40, s56, s40                                    // 0000000037EC: 80282838
	s_addc_u32 s41, 0, s41                                     // 0000000037F0: 82292980
	v_and_b32_e32 v60, 15, v0                                  // 0000000037F4: 2678008F
	v_lshlrev_b32_e32 v13, 2, v60                              // 0000000037F8: 241A7882
	v_add_u32_e32 v14, 64, v13                                 // 0000000037FC: 681C1AC0
	v_add_u32_e32 v15, 64, v14                                 // 000000003800: 681E1CC0
	v_add_u32_e32 v16, 64, v15                                 // 000000003804: 68201EC0
	s_lshr_b32 s56, s60, 7                                     // 000000003808: 8F38873C
	s_mul_i32 s57, s56, 4                                      // 00000000380C: 92398438
	v_and_b32_e64 v17, v0, 1                                   // 000000003810: D1130011 00010300
	v_mul_lo_u32 v17, v17, s57                                 // 000000003818: D2850011 00007311
	v_and_b32_e64 v60, v0, 3                                   // 000000003820: D113003C 00010700
	v_lshrrev_b32_e32 v60, 1, v60                              // 000000003828: 20787881
	v_mul_lo_u32 v60, 4, v60                                   // 00000000382C: D285003C 00027884
	v_add_u32_e32 v17, v17, v60                                // 000000003834: 68227911
	s_lshr_b32 s56, s61, 7                                     // 000000003838: 8F38873D
	s_mul_i32 s56, s56, s57                                    // 00000000383C: 92383938
	v_add_u32_e64 v19, v17, s56                                // 000000003840: D1340013 00007111
	s_mov_b32 s4, 8                                            // 000000003848: BE840088
	s_mul_i32 s56, s2, 2                                       // 00000000384C: 92388202
	s_mul_i32 s56, s56, s57                                    // 000000003850: 92383938
	s_mul_i32 s57, s5, s70                                     // 000000003854: 92394605
	s_add_u32 s57, s57, s56                                    // 000000003858: 80393839
	s_add_u32 s32, s57, s32                                    // 00000000385C: 80202039
	s_addc_u32 s33, 0, s33                                     // 000000003860: 82212180
	s_lshr_b32 s56, s61, 7                                     // 000000003864: 8F38873D
	s_mul_i32 s57, s56, 4                                      // 000000003868: 92398438
	s_mul_i32 s56, s2, 2                                       // 00000000386C: 92388202
	s_mul_i32 s56, s56, 4                                      // 000000003870: 92388438
	v_and_b32_e64 v8, v0, 1                                    // 000000003874: D1130008 00010300
	v_mul_lo_u32 v8, v8, s57                                   // 00000000387C: D2850008 00007308
	v_and_b32_e64 v60, v0, 3                                   // 000000003884: D113003C 00010700
	v_lshrrev_b32_e32 v60, 1, v60                              // 00000000388C: 20787881
	v_mul_lo_u32 v60, 4, v60                                   // 000000003890: D285003C 00027884
	v_add_i32 v8, v8, v60                                      // 000000003898: D29C0008 00027908
	v_add_i32 v8, v8, s56                                      // 0000000038A0: D29C0008 00007108
	s_mul_i32 s56, s5, s71                                     // 0000000038A8: 92384705
	s_add_u32 s16, s56, s16                                    // 0000000038AC: 80101038
	s_addc_u32 s17, 0, s17                                     // 0000000038B0: 82111180
	s_mov_b32 s53, 0x100                                       // 0000000038B4: BEB500FF 00000100
	s_mov_b32 s54, 0x1000                                      // 0000000038BC: BEB600FF 00001000
	s_mul_i32 s75, 2, s57                                      // 0000000038C4: 924B3982
	s_mov_b32 s55, 0x200                                       // 0000000038C8: BEB700FF 00000200
	s_mov_b32 s94, s54                                         // 0000000038D0: BEDE0036
	s_mov_b32 s6, 0x3fb8aa3b                                   // 0000000038D4: BE8600FF 3FB8AA3B
	s_mov_b32 m0, s48                                          // 0000000038DC: BEFC0030
	v_mov_b32_e32 v1, 0xbfcc4231                               // 0000000038E0: 7E0202FF BFCC4231
	v_mov_b32_e32 v56, 0xffff0000                              // 0000000038E8: 7E7002FF FFFF0000
	v_mov_b32_e32 v57, 0x7fff0000                              // 0000000038F0: 7E7202FF 7FFF0000
	v_mov_b32_e32 v58, 0x7fff                                  // 0000000038F8: 7E7402FF 00007FFF
	s_waitcnt vmcnt(0) expcnt(0) lgkmcnt(0)                    // 000000003900: BF8C0000
	v_and_b32_e32 v9, 0xffffff, v9                             // 000000003904: 261212FF 00FFFFFF
	v_lshlrev_b32_e32 v9, 2, v9                                // 00000000390C: 24121282
	v_and_b32_e32 v10, 0xffffff, v10                           // 000000003910: 261414FF 00FFFFFF
	v_lshlrev_b32_e32 v10, 2, v10                              // 000000003918: 24141482
	v_and_b32_e32 v11, 0xffffff, v11                           // 00000000391C: 261616FF 00FFFFFF
	v_lshlrev_b32_e32 v11, 2, v11                              // 000000003924: 24161682
	v_and_b32_e32 v12, 0xffffff, v12                           // 000000003928: 261818FF 00FFFFFF
	v_lshlrev_b32_e32 v12, 2, v12                              // 000000003930: 24181882
	s_lshr_b32 s56, s7, 1                                      // 000000003934: 8F388107
	s_lshl_b32 s3, s62, 2                                      // 000000003938: 8E03823E
	s_mul_i32 s56, s56, s3                                     // 00000000393C: 92380338
	s_add_u32 s28, s28, s56                                    // 000000003940: 801C381C
	s_addc_u32 s29, 0, s29                                     // 000000003944: 821D1D80
	s_mov_b32 s30, s3                                          // 000000003948: BE9E0003
	s_lshl_b32 s3, s3, 1                                       // 00000000394C: 8E038103
	s_and_b32 s57, s7, 1                                       // 000000003950: 86398107
	s_cmp_eq_u32 s57, 1                                        // 000000003954: BF068139
	s_cselect_b32 s56, 0, 1                                    // 000000003958: 85388180
	v_mul_lo_u32 v60, v9, s56                                  // 00000000395C: D285003C 00007109
	v_mul_lo_u32 v61, v10, s57                                 // 000000003964: D285003D 0000730A
	v_add_u32_e32 v60, v60, v61                                // 00000000396C: 68787B3C
	v_mov_b32_e32 v9, v60                                      // 000000003970: 7E12033C
	v_mul_lo_u32 v60, v11, s56                                 // 000000003974: D285003C 0000710B
	v_mul_lo_u32 v61, v12, s57                                 // 00000000397C: D285003D 0000730C
	v_add_u32_e32 v60, v60, v61                                // 000000003984: 68787B3C
	v_mov_b32_e32 v11, v60                                     // 000000003988: 7E16033C
	s_mul_i32 s56, s7, 0x100                                   // 00000000398C: 9238FF07 00000100
	s_sub_u32 s57, 4, s7                                       // 000000003994: 80B90784
	s_mul_i32 s57, s57, 0x420                                  // 000000003998: 9239FF39 00000420
	s_add_u32 s72, s56, s57                                    // 0000000039A0: 80483938
	v_lshlrev_b32_e32 v3, 2, v0                                // 0000000039A4: 24060082
	buffer_load_dword v37, v17, s[32:35], 0 offen              // 0000000039A8: E0501000 80082511
	buffer_load_dword v39, v13, s[40:43], 0 offen              // 0000000039B0: E0501000 800A270D
	buffer_load_dword v40, v14, s[40:43], 0 offen              // 0000000039B8: E0501000 800A280E
	buffer_load_dword v41, v15, s[40:43], 0 offen              // 0000000039C0: E0501000 800A290F
	buffer_load_dword v42, v16, s[40:43], 0 offen              // 0000000039C8: E0501000 800A2A10
	buffer_load_dwordx4 v43, s[20:23], 0 offen lds             // 0000000039D0: E05D1000 8005002B
	s_add_u32 m0, 0x1080, s48                                  // 0000000039D8: 807C30FF 00001080
	buffer_load_dwordx4 v44, s[20:23], 0 offen lds             // 0000000039E0: E05D1000 8005002C
	s_add_u32 m0, 0, s50                                       // 0000000039E8: 807C3280
	buffer_load_dwordx4 v45, s[20:23], 0 offen lds             // 0000000039EC: E05D1000 8005002D
	s_add_u32 m0, 0x1080, s50                                  // 0000000039F4: 807C32FF 00001080
	buffer_load_dwordx4 v46, s[20:23], 0 offen lds             // 0000000039FC: E05D1000 8005002E
	s_add_u32 m0, 0x1080, s48                                  // 000000003A04: 807C30FF 00001080
	s_add_u32 m0, m0, s72                                      // 000000003A0C: 807C487C
	buffer_load_dword v9, s[28:31], 0 offen lds                // 000000003A10: E0511000 80070009
	s_add_u32 m0, m0, 0x4a00                                   // 000000003A18: 807CFF7C 00004A00
	buffer_load_dword v11, s[28:31], 0 offen lds               // 000000003A20: E0511000 8007000B
	s_add_u32 m0, 0, s49                                       // 000000003A28: 807C3180
	s_add_u32 s20, s53, s20                                    // 000000003A2C: 80141435
	s_addc_u32 s21, 0, s21                                     // 000000003A30: 82151580
	s_add_u32 s28, s3, s28                                     // 000000003A34: 801C1C03
	s_addc_u32 s29, 0, s29                                     // 000000003A38: 821D1D80
	buffer_load_dwordx4 a[0:3], v47, s[24:27], 0 offen         // 000000003A3C: E05C1000 8086002F
	buffer_load_dwordx4 a[4:7], v47, s[24:27], 0 offen offset:1024// 000000003A44: E05C1400 8086042F
	buffer_load_dwordx4 a[8:11], v48, s[24:27], 0 offen        // 000000003A4C: E05C1000 80860830
	buffer_load_dwordx4 a[12:15], v48, s[24:27], 0 offen offset:1024// 000000003A54: E05C1400 80860C30
	buffer_load_dwordx4 a[16:19], v49, s[24:27], 0 offen       // 000000003A5C: E05C1000 80861031
	buffer_load_dwordx4 a[20:23], v49, s[24:27], 0 offen offset:1024// 000000003A64: E05C1400 80861431
	buffer_load_dwordx4 a[24:27], v50, s[24:27], 0 offen       // 000000003A6C: E05C1000 80861832
	buffer_load_dwordx4 a[28:31], v50, s[24:27], 0 offen offset:1024// 000000003A74: E05C1400 80861C32
	buffer_load_dwordx4 a[32:35], v47, s[24:27], 0 offen offset:2048// 000000003A7C: E05C1800 8086202F
	buffer_load_dwordx4 a[36:39], v47, s[24:27], 0 offen offset:3072// 000000003A84: E05C1C00 8086242F
	buffer_load_dwordx4 a[40:43], v48, s[24:27], 0 offen offset:2048// 000000003A8C: E05C1800 80862830
	buffer_load_dwordx4 a[44:47], v48, s[24:27], 0 offen offset:3072// 000000003A94: E05C1C00 80862C30
	buffer_load_dwordx4 a[48:51], v49, s[24:27], 0 offen offset:2048// 000000003A9C: E05C1800 80863031
	buffer_load_dwordx4 a[52:55], v49, s[24:27], 0 offen offset:3072// 000000003AA4: E05C1C00 80863431
	buffer_load_dwordx4 a[56:59], v50, s[24:27], 0 offen offset:2048// 000000003AAC: E05C1800 80863832
	buffer_load_dwordx4 a[60:63], v50, s[24:27], 0 offen offset:3072// 000000003AB4: E05C1C00 80863C32
	s_add_u32 s24, s54, s24                                    // 000000003ABC: 80181836
	s_addc_u32 s25, 0, s25                                     // 000000003AC0: 82191980
	v_mov_b32_e32 v64, 0                                       // 000000003AC4: 7E800280
	v_mov_b32_e32 v128, 0                                      // 000000003AC8: 7F000280
	v_mov_b32_e32 v65, 0                                       // 000000003ACC: 7E820280
	v_mov_b32_e32 v129, 0                                      // 000000003AD0: 7F020280
	v_mov_b32_e32 v66, 0                                       // 000000003AD4: 7E840280
	v_mov_b32_e32 v130, 0                                      // 000000003AD8: 7F040280
	v_mov_b32_e32 v67, 0                                       // 000000003ADC: 7E860280
	v_mov_b32_e32 v131, 0                                      // 000000003AE0: 7F060280
	v_mov_b32_e32 v68, 0                                       // 000000003AE4: 7E880280
	v_mov_b32_e32 v132, 0                                      // 000000003AE8: 7F080280
	v_mov_b32_e32 v69, 0                                       // 000000003AEC: 7E8A0280
	v_mov_b32_e32 v133, 0                                      // 000000003AF0: 7F0A0280
	v_mov_b32_e32 v70, 0                                       // 000000003AF4: 7E8C0280
	v_mov_b32_e32 v134, 0                                      // 000000003AF8: 7F0C0280
	v_mov_b32_e32 v71, 0                                       // 000000003AFC: 7E8E0280
	v_mov_b32_e32 v135, 0                                      // 000000003B00: 7F0E0280
	v_mov_b32_e32 v72, 0                                       // 000000003B04: 7E900280
	v_mov_b32_e32 v136, 0                                      // 000000003B08: 7F100280
	v_mov_b32_e32 v73, 0                                       // 000000003B0C: 7E920280
	v_mov_b32_e32 v137, 0                                      // 000000003B10: 7F120280
	v_mov_b32_e32 v74, 0                                       // 000000003B14: 7E940280
	v_mov_b32_e32 v138, 0                                      // 000000003B18: 7F140280
	v_mov_b32_e32 v75, 0                                       // 000000003B1C: 7E960280
	v_mov_b32_e32 v139, 0                                      // 000000003B20: 7F160280
	v_mov_b32_e32 v76, 0                                       // 000000003B24: 7E980280
	v_mov_b32_e32 v140, 0                                      // 000000003B28: 7F180280
	v_mov_b32_e32 v77, 0                                       // 000000003B2C: 7E9A0280
	v_mov_b32_e32 v141, 0                                      // 000000003B30: 7F1A0280
	v_mov_b32_e32 v78, 0                                       // 000000003B34: 7E9C0280
	v_mov_b32_e32 v142, 0                                      // 000000003B38: 7F1C0280
	v_mov_b32_e32 v79, 0                                       // 000000003B3C: 7E9E0280
	v_mov_b32_e32 v143, 0                                      // 000000003B40: 7F1E0280
	v_mov_b32_e32 v80, 0                                       // 000000003B44: 7EA00280
	v_mov_b32_e32 v144, 0                                      // 000000003B48: 7F200280
	v_mov_b32_e32 v81, 0                                       // 000000003B4C: 7EA20280
	v_mov_b32_e32 v145, 0                                      // 000000003B50: 7F220280
	v_mov_b32_e32 v82, 0                                       // 000000003B54: 7EA40280
	v_mov_b32_e32 v146, 0                                      // 000000003B58: 7F240280
	v_mov_b32_e32 v83, 0                                       // 000000003B5C: 7EA60280
	v_mov_b32_e32 v147, 0                                      // 000000003B60: 7F260280
	v_mov_b32_e32 v84, 0                                       // 000000003B64: 7EA80280
	v_mov_b32_e32 v148, 0                                      // 000000003B68: 7F280280
	v_mov_b32_e32 v85, 0                                       // 000000003B6C: 7EAA0280
	v_mov_b32_e32 v149, 0                                      // 000000003B70: 7F2A0280
	v_mov_b32_e32 v86, 0                                       // 000000003B74: 7EAC0280
	v_mov_b32_e32 v150, 0                                      // 000000003B78: 7F2C0280
	v_mov_b32_e32 v87, 0                                       // 000000003B7C: 7EAE0280
	v_mov_b32_e32 v151, 0                                      // 000000003B80: 7F2E0280
	v_mov_b32_e32 v88, 0                                       // 000000003B84: 7EB00280
	v_mov_b32_e32 v152, 0                                      // 000000003B88: 7F300280
	v_mov_b32_e32 v89, 0                                       // 000000003B8C: 7EB20280
	v_mov_b32_e32 v153, 0                                      // 000000003B90: 7F320280
	v_mov_b32_e32 v90, 0                                       // 000000003B94: 7EB40280
	v_mov_b32_e32 v154, 0                                      // 000000003B98: 7F340280
	v_mov_b32_e32 v91, 0                                       // 000000003B9C: 7EB60280
	v_mov_b32_e32 v155, 0                                      // 000000003BA0: 7F360280
	v_mov_b32_e32 v92, 0                                       // 000000003BA4: 7EB80280
	v_mov_b32_e32 v156, 0                                      // 000000003BA8: 7F380280
	v_mov_b32_e32 v93, 0                                       // 000000003BAC: 7EBA0280
	v_mov_b32_e32 v157, 0                                      // 000000003BB0: 7F3A0280
	v_mov_b32_e32 v94, 0                                       // 000000003BB4: 7EBC0280
	v_mov_b32_e32 v158, 0                                      // 000000003BB8: 7F3C0280
	v_mov_b32_e32 v95, 0                                       // 000000003BBC: 7EBE0280
	v_mov_b32_e32 v159, 0                                      // 000000003BC0: 7F3E0280
	v_mov_b32_e32 v96, 0                                       // 000000003BC4: 7EC00280
	v_mov_b32_e32 v160, 0                                      // 000000003BC8: 7F400280
	v_mov_b32_e32 v97, 0                                       // 000000003BCC: 7EC20280
	v_mov_b32_e32 v161, 0                                      // 000000003BD0: 7F420280
	v_mov_b32_e32 v98, 0                                       // 000000003BD4: 7EC40280
	v_mov_b32_e32 v162, 0                                      // 000000003BD8: 7F440280
	v_mov_b32_e32 v99, 0                                       // 000000003BDC: 7EC60280
	v_mov_b32_e32 v163, 0                                      // 000000003BE0: 7F460280
	v_mov_b32_e32 v100, 0                                      // 000000003BE4: 7EC80280
	v_mov_b32_e32 v164, 0                                      // 000000003BE8: 7F480280
	v_mov_b32_e32 v101, 0                                      // 000000003BEC: 7ECA0280
	v_mov_b32_e32 v165, 0                                      // 000000003BF0: 7F4A0280
	v_mov_b32_e32 v102, 0                                      // 000000003BF4: 7ECC0280
	v_mov_b32_e32 v166, 0                                      // 000000003BF8: 7F4C0280
	v_mov_b32_e32 v103, 0                                      // 000000003BFC: 7ECE0280
	v_mov_b32_e32 v167, 0                                      // 000000003C00: 7F4E0280
	v_mov_b32_e32 v104, 0                                      // 000000003C04: 7ED00280
	v_mov_b32_e32 v168, 0                                      // 000000003C08: 7F500280
	v_mov_b32_e32 v105, 0                                      // 000000003C0C: 7ED20280
	v_mov_b32_e32 v169, 0                                      // 000000003C10: 7F520280
	v_mov_b32_e32 v106, 0                                      // 000000003C14: 7ED40280
	v_mov_b32_e32 v170, 0                                      // 000000003C18: 7F540280
	v_mov_b32_e32 v107, 0                                      // 000000003C1C: 7ED60280
	v_mov_b32_e32 v171, 0                                      // 000000003C20: 7F560280
	v_mov_b32_e32 v108, 0                                      // 000000003C24: 7ED80280
	v_mov_b32_e32 v172, 0                                      // 000000003C28: 7F580280
	v_mov_b32_e32 v109, 0                                      // 000000003C2C: 7EDA0280
	v_mov_b32_e32 v173, 0                                      // 000000003C30: 7F5A0280
	v_mov_b32_e32 v110, 0                                      // 000000003C34: 7EDC0280
	v_mov_b32_e32 v174, 0                                      // 000000003C38: 7F5C0280
	v_mov_b32_e32 v111, 0                                      // 000000003C3C: 7EDE0280
	v_mov_b32_e32 v175, 0                                      // 000000003C40: 7F5E0280
	v_mov_b32_e32 v112, 0                                      // 000000003C44: 7EE00280
	v_mov_b32_e32 v176, 0                                      // 000000003C48: 7F600280
	v_mov_b32_e32 v113, 0                                      // 000000003C4C: 7EE20280
	v_mov_b32_e32 v177, 0                                      // 000000003C50: 7F620280
	v_mov_b32_e32 v114, 0                                      // 000000003C54: 7EE40280
	v_mov_b32_e32 v178, 0                                      // 000000003C58: 7F640280
	v_mov_b32_e32 v115, 0                                      // 000000003C5C: 7EE60280
	v_mov_b32_e32 v179, 0                                      // 000000003C60: 7F660280
	v_mov_b32_e32 v116, 0                                      // 000000003C64: 7EE80280
	v_mov_b32_e32 v180, 0                                      // 000000003C68: 7F680280
	v_mov_b32_e32 v117, 0                                      // 000000003C6C: 7EEA0280
	v_mov_b32_e32 v181, 0                                      // 000000003C70: 7F6A0280
	v_mov_b32_e32 v118, 0                                      // 000000003C74: 7EEC0280
	v_mov_b32_e32 v182, 0                                      // 000000003C78: 7F6C0280
	v_mov_b32_e32 v119, 0                                      // 000000003C7C: 7EEE0280
	v_mov_b32_e32 v183, 0                                      // 000000003C80: 7F6E0280
	v_mov_b32_e32 v120, 0                                      // 000000003C84: 7EF00280
	v_mov_b32_e32 v184, 0                                      // 000000003C88: 7F700280
	v_mov_b32_e32 v121, 0                                      // 000000003C8C: 7EF20280
	v_mov_b32_e32 v185, 0                                      // 000000003C90: 7F720280
	v_mov_b32_e32 v122, 0                                      // 000000003C94: 7EF40280
	v_mov_b32_e32 v186, 0                                      // 000000003C98: 7F740280
	v_mov_b32_e32 v123, 0                                      // 000000003C9C: 7EF60280
	v_mov_b32_e32 v187, 0                                      // 000000003CA0: 7F760280
	v_mov_b32_e32 v124, 0                                      // 000000003CA4: 7EF80280
	v_mov_b32_e32 v188, 0                                      // 000000003CA8: 7F780280
	v_mov_b32_e32 v125, 0                                      // 000000003CAC: 7EFA0280
	v_mov_b32_e32 v189, 0                                      // 000000003CB0: 7F7A0280
	v_mov_b32_e32 v126, 0                                      // 000000003CB4: 7EFC0280
	v_mov_b32_e32 v190, 0                                      // 000000003CB8: 7F7C0280
	v_mov_b32_e32 v127, 0                                      // 000000003CBC: 7EFE0280
	v_mov_b32_e32 v191, 0                                      // 000000003CC0: 7F7E0280
	v_mov_b32_e32 v128, 0                                      // 000000003CC4: 7F000280
	v_mov_b32_e32 v192, 0                                      // 000000003CC8: 7F800280
	v_mov_b32_e32 v129, 0                                      // 000000003CCC: 7F020280
	v_mov_b32_e32 v193, 0                                      // 000000003CD0: 7F820280
	v_mov_b32_e32 v130, 0                                      // 000000003CD4: 7F040280
	v_mov_b32_e32 v194, 0                                      // 000000003CD8: 7F840280
	v_mov_b32_e32 v131, 0                                      // 000000003CDC: 7F060280
	v_mov_b32_e32 v195, 0                                      // 000000003CE0: 7F860280
	v_mov_b32_e32 v132, 0                                      // 000000003CE4: 7F080280
	v_mov_b32_e32 v196, 0                                      // 000000003CE8: 7F880280
	v_mov_b32_e32 v133, 0                                      // 000000003CEC: 7F0A0280
	v_mov_b32_e32 v197, 0                                      // 000000003CF0: 7F8A0280
	v_mov_b32_e32 v134, 0                                      // 000000003CF4: 7F0C0280
	v_mov_b32_e32 v198, 0                                      // 000000003CF8: 7F8C0280
	v_mov_b32_e32 v135, 0                                      // 000000003CFC: 7F0E0280
	v_mov_b32_e32 v199, 0                                      // 000000003D00: 7F8E0280
	v_mov_b32_e32 v136, 0                                      // 000000003D04: 7F100280
	v_mov_b32_e32 v200, 0                                      // 000000003D08: 7F900280
	v_mov_b32_e32 v137, 0                                      // 000000003D0C: 7F120280
	v_mov_b32_e32 v201, 0                                      // 000000003D10: 7F920280
	v_mov_b32_e32 v138, 0                                      // 000000003D14: 7F140280
	v_mov_b32_e32 v202, 0                                      // 000000003D18: 7F940280
	v_mov_b32_e32 v139, 0                                      // 000000003D1C: 7F160280
	v_mov_b32_e32 v203, 0                                      // 000000003D20: 7F960280
	v_mov_b32_e32 v140, 0                                      // 000000003D24: 7F180280
	v_mov_b32_e32 v204, 0                                      // 000000003D28: 7F980280
	v_mov_b32_e32 v141, 0                                      // 000000003D2C: 7F1A0280
	v_mov_b32_e32 v205, 0                                      // 000000003D30: 7F9A0280
	v_mov_b32_e32 v142, 0                                      // 000000003D34: 7F1C0280
	v_mov_b32_e32 v206, 0                                      // 000000003D38: 7F9C0280
	v_mov_b32_e32 v143, 0                                      // 000000003D3C: 7F1E0280
	v_mov_b32_e32 v207, 0                                      // 000000003D40: 7F9E0280
	v_mov_b32_e32 v144, 0                                      // 000000003D44: 7F200280
	v_mov_b32_e32 v208, 0                                      // 000000003D48: 7FA00280
	v_mov_b32_e32 v145, 0                                      // 000000003D4C: 7F220280
	v_mov_b32_e32 v209, 0                                      // 000000003D50: 7FA20280
	v_mov_b32_e32 v146, 0                                      // 000000003D54: 7F240280
	v_mov_b32_e32 v210, 0                                      // 000000003D58: 7FA40280
	v_mov_b32_e32 v147, 0                                      // 000000003D5C: 7F260280
	v_mov_b32_e32 v211, 0                                      // 000000003D60: 7FA60280
	v_mov_b32_e32 v148, 0                                      // 000000003D64: 7F280280
	v_mov_b32_e32 v212, 0                                      // 000000003D68: 7FA80280
	v_mov_b32_e32 v149, 0                                      // 000000003D6C: 7F2A0280
	v_mov_b32_e32 v213, 0                                      // 000000003D70: 7FAA0280
	v_mov_b32_e32 v150, 0                                      // 000000003D74: 7F2C0280
	v_mov_b32_e32 v214, 0                                      // 000000003D78: 7FAC0280
	v_mov_b32_e32 v151, 0                                      // 000000003D7C: 7F2E0280
	v_mov_b32_e32 v215, 0                                      // 000000003D80: 7FAE0280
	v_mov_b32_e32 v152, 0                                      // 000000003D84: 7F300280
	v_mov_b32_e32 v216, 0                                      // 000000003D88: 7FB00280
	v_mov_b32_e32 v153, 0                                      // 000000003D8C: 7F320280
	v_mov_b32_e32 v217, 0                                      // 000000003D90: 7FB20280
	v_mov_b32_e32 v154, 0                                      // 000000003D94: 7F340280
	v_mov_b32_e32 v218, 0                                      // 000000003D98: 7FB40280
	v_mov_b32_e32 v155, 0                                      // 000000003D9C: 7F360280
	v_mov_b32_e32 v219, 0                                      // 000000003DA0: 7FB60280
	v_mov_b32_e32 v156, 0                                      // 000000003DA4: 7F380280
	v_mov_b32_e32 v220, 0                                      // 000000003DA8: 7FB80280
	v_mov_b32_e32 v157, 0                                      // 000000003DAC: 7F3A0280
	v_mov_b32_e32 v221, 0                                      // 000000003DB0: 7FBA0280
	v_mov_b32_e32 v158, 0                                      // 000000003DB4: 7F3C0280
	v_mov_b32_e32 v222, 0                                      // 000000003DB8: 7FBC0280
	v_mov_b32_e32 v159, 0                                      // 000000003DBC: 7F3E0280
	v_mov_b32_e32 v223, 0                                      // 000000003DC0: 7FBE0280
	v_mov_b32_e32 v160, 0                                      // 000000003DC4: 7F400280
	v_mov_b32_e32 v224, 0                                      // 000000003DC8: 7FC00280
	v_mov_b32_e32 v161, 0                                      // 000000003DCC: 7F420280
	v_mov_b32_e32 v225, 0                                      // 000000003DD0: 7FC20280
	v_mov_b32_e32 v162, 0                                      // 000000003DD4: 7F440280
	v_mov_b32_e32 v226, 0                                      // 000000003DD8: 7FC40280
	v_mov_b32_e32 v163, 0                                      // 000000003DDC: 7F460280
	v_mov_b32_e32 v227, 0                                      // 000000003DE0: 7FC60280
	v_mov_b32_e32 v164, 0                                      // 000000003DE4: 7F480280
	v_mov_b32_e32 v228, 0                                      // 000000003DE8: 7FC80280
	v_mov_b32_e32 v165, 0                                      // 000000003DEC: 7F4A0280
	v_mov_b32_e32 v229, 0                                      // 000000003DF0: 7FCA0280
	v_mov_b32_e32 v166, 0                                      // 000000003DF4: 7F4C0280
	v_mov_b32_e32 v230, 0                                      // 000000003DF8: 7FCC0280
	v_mov_b32_e32 v167, 0                                      // 000000003DFC: 7F4E0280
	v_mov_b32_e32 v231, 0                                      // 000000003E00: 7FCE0280
	v_mov_b32_e32 v168, 0                                      // 000000003E04: 7F500280
	v_mov_b32_e32 v232, 0                                      // 000000003E08: 7FD00280
	v_mov_b32_e32 v169, 0                                      // 000000003E0C: 7F520280
	v_mov_b32_e32 v233, 0                                      // 000000003E10: 7FD20280
	v_mov_b32_e32 v170, 0                                      // 000000003E14: 7F540280
	v_mov_b32_e32 v234, 0                                      // 000000003E18: 7FD40280
	v_mov_b32_e32 v171, 0                                      // 000000003E1C: 7F560280
	v_mov_b32_e32 v235, 0                                      // 000000003E20: 7FD60280
	v_mov_b32_e32 v172, 0                                      // 000000003E24: 7F580280
	v_mov_b32_e32 v236, 0                                      // 000000003E28: 7FD80280
	v_mov_b32_e32 v173, 0                                      // 000000003E2C: 7F5A0280
	v_mov_b32_e32 v237, 0                                      // 000000003E30: 7FDA0280
	v_mov_b32_e32 v174, 0                                      // 000000003E34: 7F5C0280
	v_mov_b32_e32 v238, 0                                      // 000000003E38: 7FDC0280
	v_mov_b32_e32 v175, 0                                      // 000000003E3C: 7F5E0280
	v_mov_b32_e32 v239, 0                                      // 000000003E40: 7FDE0280
	v_mov_b32_e32 v176, 0                                      // 000000003E44: 7F600280
	v_mov_b32_e32 v240, 0                                      // 000000003E48: 7FE00280
	v_mov_b32_e32 v177, 0                                      // 000000003E4C: 7F620280
	v_mov_b32_e32 v241, 0                                      // 000000003E50: 7FE20280
	v_mov_b32_e32 v178, 0                                      // 000000003E54: 7F640280
	v_mov_b32_e32 v242, 0                                      // 000000003E58: 7FE40280
	v_mov_b32_e32 v179, 0                                      // 000000003E5C: 7F660280
	v_mov_b32_e32 v243, 0                                      // 000000003E60: 7FE60280
	v_mov_b32_e32 v180, 0                                      // 000000003E64: 7F680280
	v_mov_b32_e32 v244, 0                                      // 000000003E68: 7FE80280
	v_mov_b32_e32 v181, 0                                      // 000000003E6C: 7F6A0280
	v_mov_b32_e32 v245, 0                                      // 000000003E70: 7FEA0280
	v_mov_b32_e32 v182, 0                                      // 000000003E74: 7F6C0280
	v_mov_b32_e32 v246, 0                                      // 000000003E78: 7FEC0280
	v_mov_b32_e32 v183, 0                                      // 000000003E7C: 7F6E0280
	v_mov_b32_e32 v247, 0                                      // 000000003E80: 7FEE0280
	v_mov_b32_e32 v184, 0                                      // 000000003E84: 7F700280
	v_mov_b32_e32 v248, 0                                      // 000000003E88: 7FF00280
	v_mov_b32_e32 v185, 0                                      // 000000003E8C: 7F720280
	v_mov_b32_e32 v249, 0                                      // 000000003E90: 7FF20280
	v_mov_b32_e32 v186, 0                                      // 000000003E94: 7F740280
	v_mov_b32_e32 v250, 0                                      // 000000003E98: 7FF40280
	v_mov_b32_e32 v187, 0                                      // 000000003E9C: 7F760280
	v_mov_b32_e32 v251, 0                                      // 000000003EA0: 7FF60280
	v_mov_b32_e32 v188, 0                                      // 000000003EA4: 7F780280
	v_mov_b32_e32 v252, 0                                      // 000000003EA8: 7FF80280
	v_mov_b32_e32 v189, 0                                      // 000000003EAC: 7F7A0280
	v_mov_b32_e32 v253, 0                                      // 000000003EB0: 7FFA0280
	v_mov_b32_e32 v190, 0                                      // 000000003EB4: 7F7C0280
	v_mov_b32_e32 v254, 0                                      // 000000003EB8: 7FFC0280
	v_mov_b32_e32 v191, 0                                      // 000000003EBC: 7F7E0280
	v_mov_b32_e32 v255, 0                                      // 000000003EC0: 7FFE0280
	v_lshrrev_b32_e32 v60, 4, v0                               // 000000003EC4: 20780084
	v_mul_lo_u32 v4, 34, v60                                   // 000000003EC8: D2850004 000278A2
	v_and_b32_e32 v60, 15, v0                                  // 000000003ED0: 2678008F
	v_mul_lo_u32 v61, 2, v60                                   // 000000003ED4: D285003D 00027882
	v_add_u32_e32 v4, v61, v4                                  // 000000003EDC: 6808093D
	s_mul_i32 s56, s7, 0x88                                    // 000000003EE0: 9238FF07 00000088
	v_add_u32_e32 v4, s56, v4                                  // 000000003EE8: 68080838
	v_mov_b32_e32 v5, v4                                       // 000000003EEC: 7E0A0304
	v_mov_b32_e32 v60, 0                                       // 000000003EF0: 7E780280
	v_mov_b32_e32 v61, 0x1280                                  // 000000003EF4: 7E7A02FF 00001280
	v_add_u32_e32 v4, v4, v60                                  // 000000003EFC: 68087904
	v_add_u32_e32 v5, v5, v61                                  // 000000003F00: 680A7B05
	v_lshlrev_b32_e32 v4, 2, v4                                // 000000003F04: 24080882
	v_lshlrev_b32_e32 v5, 2, v5                                // 000000003F08: 240A0A82
	v_lshrrev_b32_e32 v60, 1, v0                               // 000000003F0C: 20780081
	v_mul_lo_u32 v6, 34, v60                                   // 000000003F10: D2850006 000278A2
	v_and_b32_e32 v61, 1, v0                                   // 000000003F18: 267A0081
	v_add_u32_e32 v6, v61, v6                                  // 000000003F1C: 680C0D3D
	s_mov_b32 s56, 0                                           // 000000003F20: BEB80080
	s_lshr_b32 s57, s7, 1                                      // 000000003F24: 8F398107
	s_mul_i32 s57, s57, 8                                      // 000000003F28: 92398839
	s_add_u32 s56, s57, s56                                    // 000000003F2C: 80383839
	s_and_b32 s57, s7, 1                                       // 000000003F30: 86398107
	s_mul_i32 s57, s57, 2                                      // 000000003F34: 92398239
	s_add_u32 s56, s57, s56                                    // 000000003F38: 80383839
	s_mul_i32 s56, 2, s56                                      // 000000003F3C: 92383882
	v_add_u32_e32 v6, s56, v6                                  // 000000003F40: 680C0C38
	v_mov_b32_e32 v7, v6                                       // 000000003F44: 7E0E0306
	v_mov_b32_e32 v60, 0                                       // 000000003F48: 7E780280
	v_mov_b32_e32 v61, 0x1280                                  // 000000003F4C: 7E7A02FF 00001280
	v_add_u32_e32 v6, v6, v60                                  // 000000003F54: 680C7906
	v_add_u32_e32 v7, v7, v61                                  // 000000003F58: 680E7B07
	v_lshlrev_b32_e32 v6, 2, v6                                // 000000003F5C: 240C0C82
	v_lshlrev_b32_e32 v7, 2, v7                                // 000000003F60: 240E0E82
	s_waitcnt vmcnt(16)                                        // 000000003F64: BF8C4F70
	s_barrier                                                  // 000000003F68: BF8A0000
	ds_read_b128 a[128:131], v2                                // 000000003F6C: DBFE0000 80000002
	ds_read_b128 a[132:135], v2 offset:64                      // 000000003F74: DBFE0040 84000002
	ds_read_b128 a[136:139], v2 offset:4224                    // 000000003F7C: DBFE1080 88000002
	ds_read_b128 a[140:143], v2 offset:4288                    // 000000003F84: DBFE10C0 8C000002
	ds_read_b128 a[144:147], v2 offset:512                     // 000000003F8C: DBFE0200 90000002
	ds_read_b128 a[148:151], v2 offset:576                     // 000000003F94: DBFE0240 94000002
	ds_read_b128 a[152:155], v2 offset:4736                    // 000000003F9C: DBFE1280 98000002
	ds_read_b128 a[156:159], v2 offset:4800                    // 000000003FA4: DBFE12C0 9C000002
	ds_read_b128 a[160:163], v2 offset:18944                   // 000000003FAC: DBFE4A00 A0000002
	ds_read_b128 a[164:167], v2 offset:19008                   // 000000003FB4: DBFE4A40 A4000002
	ds_read_b128 a[168:171], v2 offset:23168                   // 000000003FBC: DBFE5A80 A8000002
	ds_read_b128 a[172:175], v2 offset:23232                   // 000000003FC4: DBFE5AC0 AC000002
	ds_read_b128 a[176:179], v2 offset:19456                   // 000000003FCC: DBFE4C00 B0000002
	ds_read_b128 a[180:183], v2 offset:19520                   // 000000003FD4: DBFE4C40 B4000002
	ds_read_b128 a[184:187], v2 offset:23680                   // 000000003FDC: DBFE5C80 B8000002
	ds_read_b128 a[188:191], v2 offset:23744                   // 000000003FE4: DBFE5CC0 BC000002
	ds_read_b32 v21, v3 offset:8448                            // 000000003FEC: D86C2100 15000003
	ds_read_b32 v22, v3 offset:8704                            // 000000003FF4: D86C2200 16000003
	ds_read_b32 v23, v3 offset:27392                           // 000000003FFC: D86C6B00 17000003
	ds_read_b32 v24, v3 offset:27648                           // 000000004004: D86C6C00 18000003
	ds_read_b32 v25, v3 offset:8960                            // 00000000400C: D86C2300 19000003
	ds_read_b32 v26, v3 offset:9216                            // 000000004014: D86C2400 1A000003
	ds_read_b32 v27, v3 offset:27904                           // 00000000401C: D86C6D00 1B000003
	ds_read_b32 v28, v3 offset:28160                           // 000000004024: D86C6E00 1C000003
	s_cmp_lt_i32 s7, 2                                         // 00000000402C: BF048207
	s_cbranch_scc0 label_14D2                                  // 000000004030: BF841045

0000000000004034 <label_048D>:
	s_waitcnt vmcnt(12) lgkmcnt(0)                             // 000000004034: BF8C007C
	s_barrier                                                  // 000000004038: BF8A0000
	v_mfma_f32_16x16x128_f8f6f4 v[192:195], a[0:7], a[128:135], 0// 00000000403C: D3AD00C0 1A030100
	v_mfma_f32_16x16x128_f8f6f4 v[196:199], a[0:7], a[144:151], 0// 000000004044: D3AD00C4 1A032100
	buffer_load_dwordx4 v43, s[20:23], 0 offen lds             // 00000000404C: E05D1000 8005002B
	s_add_u32 m0, 0x1080, s49                                  // 000000004054: 807C31FF 00001080
	buffer_load_dwordx4 v44, s[20:23], 0 offen lds             // 00000000405C: E05D1000 8005002C
	s_add_u32 m0, 0, s51                                       // 000000004064: 807C3380
	buffer_load_dwordx4 v45, s[20:23], 0 offen lds             // 000000004068: E05D1000 8005002D
	s_add_u32 m0, 0x1080, s51                                  // 000000004070: 807C33FF 00001080
	buffer_load_dwordx4 v46, s[20:23], 0 offen lds             // 000000004078: E05D1000 8005002E
	s_add_u32 m0, 0x1080, s49                                  // 000000004080: 807C31FF 00001080
	s_add_u32 m0, m0, s72                                      // 000000004088: 807C487C
	buffer_load_dword v9, s[28:31], 0 offen lds                // 00000000408C: E0511000 80070009
	s_add_u32 m0, m0, 0x4a00                                   // 000000004094: 807CFF7C 00004A00
	buffer_load_dword v11, s[28:31], 0 offen lds               // 00000000409C: E0511000 8007000B
	s_add_u32 m0, 0, s48                                       // 0000000040A4: 807C3080
	buffer_load_dword v38, v19, s[32:35], 0 offen              // 0000000040A8: E0501000 80082613
	buffer_load_dwordx4 a[64:67], v47, s[96:99], 0 offen       // 0000000040B0: E05C1000 8098402F
	buffer_load_dwordx4 a[68:71], v47, s[96:99], 0 offen offset:1024// 0000000040B8: E05C1400 8098442F
	v_mfma_f32_16x16x128_f8f6f4 v[200:203], a[0:7], a[160:167], 0// 0000000040C0: D3AD00C8 1A034100
	v_mfma_f32_16x16x128_f8f6f4 v[204:207], a[0:7], a[176:183], 0// 0000000040C8: D3AD00CC 1A036100
	buffer_load_dwordx4 a[72:75], v48, s[96:99], 0 offen       // 0000000040D0: E05C1000 80984830
	buffer_load_dwordx4 a[76:79], v48, s[96:99], 0 offen offset:1024// 0000000040D8: E05C1400 80984C30
	v_mfma_f32_16x16x128_f8f6f4 v[208:211], a[8:15], a[128:135], 0// 0000000040E0: D3AD00D0 1A030108
	v_mfma_f32_16x16x128_f8f6f4 v[212:215], a[8:15], a[144:151], 0// 0000000040E8: D3AD00D4 1A032108
	buffer_load_dwordx4 a[80:83], v49, s[96:99], 0 offen       // 0000000040F0: E05C1000 80985031
	buffer_load_dwordx4 a[84:87], v49, s[96:99], 0 offen offset:1024// 0000000040F8: E05C1400 80985431
	v_mfma_f32_16x16x128_f8f6f4 v[216:219], a[8:15], a[160:167], 0// 000000004100: D3AD00D8 1A034108
	v_mfma_f32_16x16x128_f8f6f4 v[220:223], a[8:15], a[176:183], 0// 000000004108: D3AD00DC 1A036108
	buffer_load_dwordx4 a[88:91], v50, s[96:99], 0 offen       // 000000004110: E05C1000 80985832
	buffer_load_dwordx4 a[92:95], v50, s[96:99], 0 offen offset:1024// 000000004118: E05C1400 80985C32
	s_waitcnt vmcnt(23)                                        // 000000004120: BF8C4F77
	v_mfma_f32_16x16x128_f8f6f4 v[224:227], a[16:23], a[128:135], 0// 000000004124: D3AD00E0 1A030110
	v_mfma_f32_16x16x128_f8f6f4 v[228:231], a[16:23], a[144:151], 0// 00000000412C: D3AD00E4 1A032110
	buffer_load_dwordx4 a[96:99], v47, s[96:99], 0 offen offset:2048// 000000004134: E05C1800 8098602F
	buffer_load_dwordx4 a[100:103], v47, s[96:99], 0 offen offset:3072// 00000000413C: E05C1C00 8098642F
	v_mfma_f32_16x16x128_f8f6f4 v[232:235], a[16:23], a[160:167], 0// 000000004144: D3AD00E8 1A034110
	v_mfma_f32_16x16x128_f8f6f4 v[236:239], a[16:23], a[176:183], 0// 00000000414C: D3AD00EC 1A036110
	buffer_load_dwordx4 a[104:107], v48, s[96:99], 0 offen offset:2048// 000000004154: E05C1800 80986830
	buffer_load_dwordx4 a[108:111], v48, s[96:99], 0 offen offset:3072// 00000000415C: E05C1C00 80986C30
	v_mfma_f32_16x16x128_f8f6f4 v[240:243], a[24:31], a[128:135], 0// 000000004164: D3AD00F0 1A030118
	v_mfma_f32_16x16x128_f8f6f4 v[244:247], a[24:31], a[144:151], 0// 00000000416C: D3AD00F4 1A032118
	buffer_load_dwordx4 a[112:115], v49, s[96:99], 0 offen offset:2048// 000000004174: E05C1800 80987031
	buffer_load_dwordx4 a[116:119], v49, s[96:99], 0 offen offset:3072// 00000000417C: E05C1C00 80987431
	v_mfma_f32_16x16x128_f8f6f4 v[248:251], a[24:31], a[160:167], 0// 000000004184: D3AD00F8 1A034118
	v_mfma_f32_16x16x128_f8f6f4 v[252:255], a[24:31], a[176:183], 0// 00000000418C: D3AD00FC 1A036118
	buffer_load_dwordx4 a[120:123], v50, s[96:99], 0 offen offset:2048// 000000004194: E05C1800 80987832
	buffer_load_dwordx4 a[124:127], v50, s[96:99], 0 offen offset:3072// 00000000419C: E05C1C00 80987C32
	v_mul_f32_dpp v60, v37, v21 row_newbcast:0 row_mask:0xf bank_mask:0xf// 0000000041A4: 0A782AFA FF015025
	v_mov_b32_e32 v61, v60                                     // 0000000041AC: 7E7A033C
	v_pk_fma_f32 v[64:65], v[192:193], v[60:61], v[64:65]      // 0000000041B0: D3B04040 1D0279C0
	v_pk_fma_f32 v[66:67], v[194:195], v[60:61], v[66:67]      // 0000000041B8: D3B04042 1D0A79C2
	v_pk_fma_f32 v[80:81], v[208:209], v[60:61], v[80:81]      // 0000000041C0: D3B04050 1D4279D0
	v_pk_fma_f32 v[82:83], v[210:211], v[60:61], v[82:83]      // 0000000041C8: D3B04052 1D4A79D2
	v_mul_f32_dpp v60, v37, v21 row_newbcast:1 row_mask:0xf bank_mask:0xf// 0000000041D0: 0A782AFA FF015125
	v_mov_b32_e32 v61, v60                                     // 0000000041D8: 7E7A033C
	v_pk_fma_f32 v[96:97], v[224:225], v[60:61], v[96:97]      // 0000000041DC: D3B04060 1D8279E0
	v_pk_fma_f32 v[98:99], v[226:227], v[60:61], v[98:99]      // 0000000041E4: D3B04062 1D8A79E2
	v_pk_fma_f32 v[112:113], v[240:241], v[60:61], v[112:113]  // 0000000041EC: D3B04070 1DC279F0
	v_pk_fma_f32 v[114:115], v[242:243], v[60:61], v[114:115]  // 0000000041F4: D3B04072 1DCA79F2
	v_mul_f32_dpp v60, v37, v22 row_newbcast:0 row_mask:0xf bank_mask:0xf// 0000000041FC: 0A782CFA FF015025
	v_mov_b32_e32 v61, v60                                     // 000000004204: 7E7A033C
	v_pk_fma_f32 v[68:69], v[196:197], v[60:61], v[68:69]      // 000000004208: D3B04044 1D1279C4
	v_pk_fma_f32 v[70:71], v[198:199], v[60:61], v[70:71]      // 000000004210: D3B04046 1D1A79C6
	v_pk_fma_f32 v[84:85], v[212:213], v[60:61], v[84:85]      // 000000004218: D3B04054 1D5279D4
	v_pk_fma_f32 v[86:87], v[214:215], v[60:61], v[86:87]      // 000000004220: D3B04056 1D5A79D6
	v_mul_f32_dpp v60, v37, v22 row_newbcast:1 row_mask:0xf bank_mask:0xf// 000000004228: 0A782CFA FF015125
	v_mov_b32_e32 v61, v60                                     // 000000004230: 7E7A033C
	v_pk_fma_f32 v[100:101], v[228:229], v[60:61], v[100:101]  // 000000004234: D3B04064 1D9279E4
	v_pk_fma_f32 v[102:103], v[230:231], v[60:61], v[102:103]  // 00000000423C: D3B04066 1D9A79E6
	v_pk_fma_f32 v[116:117], v[244:245], v[60:61], v[116:117]  // 000000004244: D3B04074 1DD279F4
	v_pk_fma_f32 v[118:119], v[246:247], v[60:61], v[118:119]  // 00000000424C: D3B04076 1DDA79F6
	v_mul_f32_dpp v60, v37, v23 row_newbcast:0 row_mask:0xf bank_mask:0xf// 000000004254: 0A782EFA FF015025
	v_mov_b32_e32 v61, v60                                     // 00000000425C: 7E7A033C
	v_pk_fma_f32 v[72:73], v[200:201], v[60:61], v[72:73]      // 000000004260: D3B04048 1D2279C8
	v_pk_fma_f32 v[74:75], v[202:203], v[60:61], v[74:75]      // 000000004268: D3B0404A 1D2A79CA
	v_pk_fma_f32 v[88:89], v[216:217], v[60:61], v[88:89]      // 000000004270: D3B04058 1D6279D8
	v_pk_fma_f32 v[90:91], v[218:219], v[60:61], v[90:91]      // 000000004278: D3B0405A 1D6A79DA
	v_mul_f32_dpp v60, v37, v23 row_newbcast:1 row_mask:0xf bank_mask:0xf// 000000004280: 0A782EFA FF015125
	v_mov_b32_e32 v61, v60                                     // 000000004288: 7E7A033C
	v_pk_fma_f32 v[104:105], v[232:233], v[60:61], v[104:105]  // 00000000428C: D3B04068 1DA279E8
	v_pk_fma_f32 v[106:107], v[234:235], v[60:61], v[106:107]  // 000000004294: D3B0406A 1DAA79EA
	v_pk_fma_f32 v[120:121], v[248:249], v[60:61], v[120:121]  // 00000000429C: D3B04078 1DE279F8
	v_pk_fma_f32 v[122:123], v[250:251], v[60:61], v[122:123]  // 0000000042A4: D3B0407A 1DEA79FA
	v_mul_f32_dpp v60, v37, v24 row_newbcast:0 row_mask:0xf bank_mask:0xf// 0000000042AC: 0A7830FA FF015025
	v_mov_b32_e32 v61, v60                                     // 0000000042B4: 7E7A033C
	v_pk_fma_f32 v[76:77], v[204:205], v[60:61], v[76:77]      // 0000000042B8: D3B0404C 1D3279CC
	v_pk_fma_f32 v[78:79], v[206:207], v[60:61], v[78:79]      // 0000000042C0: D3B0404E 1D3A79CE
	v_pk_fma_f32 v[92:93], v[220:221], v[60:61], v[92:93]      // 0000000042C8: D3B0405C 1D7279DC
	v_pk_fma_f32 v[94:95], v[222:223], v[60:61], v[94:95]      // 0000000042D0: D3B0405E 1D7A79DE
	v_mul_f32_dpp v60, v37, v24 row_newbcast:1 row_mask:0xf bank_mask:0xf// 0000000042D8: 0A7830FA FF015125
	v_mov_b32_e32 v61, v60                                     // 0000000042E0: 7E7A033C
	v_pk_fma_f32 v[108:109], v[236:237], v[60:61], v[108:109]  // 0000000042E4: D3B0406C 1DB279EC
	v_pk_fma_f32 v[110:111], v[238:239], v[60:61], v[110:111]  // 0000000042EC: D3B0406E 1DBA79EE
	v_pk_fma_f32 v[124:125], v[252:253], v[60:61], v[124:125]  // 0000000042F4: D3B0407C 1DF279FC
	v_pk_fma_f32 v[126:127], v[254:255], v[60:61], v[126:127]  // 0000000042FC: D3B0407E 1DFA79FE
	s_waitcnt vmcnt(27)                                        // 000000004304: BF8C4F7B
	v_mfma_f32_16x16x128_f8f6f4 v[192:195], a[32:39], a[136:143], 0// 000000004308: D3AD00C0 1A031120
	v_mfma_f32_16x16x128_f8f6f4 v[196:199], a[32:39], a[152:159], 0// 000000004310: D3AD00C4 1A033120
	v_mfma_f32_16x16x128_f8f6f4 v[200:203], a[32:39], a[168:175], 0// 000000004318: D3AD00C8 1A035120
	v_mfma_f32_16x16x128_f8f6f4 v[204:207], a[32:39], a[184:191], 0// 000000004320: D3AD00CC 1A037120
	v_mfma_f32_16x16x128_f8f6f4 v[208:211], a[40:47], a[136:143], 0// 000000004328: D3AD00D0 1A031128
	v_mfma_f32_16x16x128_f8f6f4 v[212:215], a[40:47], a[152:159], 0// 000000004330: D3AD00D4 1A033128
	v_mfma_f32_16x16x128_f8f6f4 v[216:219], a[40:47], a[168:175], 0// 000000004338: D3AD00D8 1A035128
	v_mfma_f32_16x16x128_f8f6f4 v[220:223], a[40:47], a[184:191], 0// 000000004340: D3AD00DC 1A037128
	s_waitcnt vmcnt(23)                                        // 000000004348: BF8C4F77
	v_mfma_f32_16x16x128_f8f6f4 v[224:227], a[48:55], a[136:143], 0// 00000000434C: D3AD00E0 1A031130
	v_mfma_f32_16x16x128_f8f6f4 v[228:231], a[48:55], a[152:159], 0// 000000004354: D3AD00E4 1A033130
	v_mfma_f32_16x16x128_f8f6f4 v[232:235], a[48:55], a[168:175], 0// 00000000435C: D3AD00E8 1A035130
	v_mfma_f32_16x16x128_f8f6f4 v[236:239], a[48:55], a[184:191], 0// 000000004364: D3AD00EC 1A037130
	v_mfma_f32_16x16x128_f8f6f4 v[240:243], a[56:63], a[136:143], 0// 00000000436C: D3AD00F0 1A031138
	v_mfma_f32_16x16x128_f8f6f4 v[244:247], a[56:63], a[152:159], 0// 000000004374: D3AD00F4 1A033138
	v_mfma_f32_16x16x128_f8f6f4 v[248:251], a[56:63], a[168:175], 0// 00000000437C: D3AD00F8 1A035138
	v_mfma_f32_16x16x128_f8f6f4 v[252:255], a[56:63], a[184:191], 0// 000000004384: D3AD00FC 1A037138
	v_mul_f32_dpp v60, v37, v25 row_newbcast:2 row_mask:0xf bank_mask:0xf// 00000000438C: 0A7832FA FF015225
	v_mov_b32_e32 v61, v60                                     // 000000004394: 7E7A033C
	v_pk_fma_f32 v[64:65], v[192:193], v[60:61], v[64:65]      // 000000004398: D3B04040 1D0279C0
	v_pk_fma_f32 v[66:67], v[194:195], v[60:61], v[66:67]      // 0000000043A0: D3B04042 1D0A79C2
	v_pk_fma_f32 v[80:81], v[208:209], v[60:61], v[80:81]      // 0000000043A8: D3B04050 1D4279D0
	v_pk_fma_f32 v[82:83], v[210:211], v[60:61], v[82:83]      // 0000000043B0: D3B04052 1D4A79D2
	v_mul_f32_dpp v60, v37, v25 row_newbcast:3 row_mask:0xf bank_mask:0xf// 0000000043B8: 0A7832FA FF015325
	v_mov_b32_e32 v61, v60                                     // 0000000043C0: 7E7A033C
	v_pk_fma_f32 v[96:97], v[224:225], v[60:61], v[96:97]      // 0000000043C4: D3B04060 1D8279E0
	v_pk_fma_f32 v[98:99], v[226:227], v[60:61], v[98:99]      // 0000000043CC: D3B04062 1D8A79E2
	v_pk_fma_f32 v[112:113], v[240:241], v[60:61], v[112:113]  // 0000000043D4: D3B04070 1DC279F0
	v_pk_fma_f32 v[114:115], v[242:243], v[60:61], v[114:115]  // 0000000043DC: D3B04072 1DCA79F2
	v_mul_f32_dpp v60, v37, v26 row_newbcast:2 row_mask:0xf bank_mask:0xf// 0000000043E4: 0A7834FA FF015225
	v_mov_b32_e32 v61, v60                                     // 0000000043EC: 7E7A033C
	v_pk_fma_f32 v[68:69], v[196:197], v[60:61], v[68:69]      // 0000000043F0: D3B04044 1D1279C4
	v_pk_fma_f32 v[70:71], v[198:199], v[60:61], v[70:71]      // 0000000043F8: D3B04046 1D1A79C6
	v_pk_fma_f32 v[84:85], v[212:213], v[60:61], v[84:85]      // 000000004400: D3B04054 1D5279D4
	v_pk_fma_f32 v[86:87], v[214:215], v[60:61], v[86:87]      // 000000004408: D3B04056 1D5A79D6
	v_mul_f32_dpp v60, v37, v26 row_newbcast:3 row_mask:0xf bank_mask:0xf// 000000004410: 0A7834FA FF015325
	v_mov_b32_e32 v61, v60                                     // 000000004418: 7E7A033C
	v_pk_fma_f32 v[100:101], v[228:229], v[60:61], v[100:101]  // 00000000441C: D3B04064 1D9279E4
	v_pk_fma_f32 v[102:103], v[230:231], v[60:61], v[102:103]  // 000000004424: D3B04066 1D9A79E6
	v_pk_fma_f32 v[116:117], v[244:245], v[60:61], v[116:117]  // 00000000442C: D3B04074 1DD279F4
	v_pk_fma_f32 v[118:119], v[246:247], v[60:61], v[118:119]  // 000000004434: D3B04076 1DDA79F6
	v_mul_f32_dpp v60, v37, v27 row_newbcast:2 row_mask:0xf bank_mask:0xf// 00000000443C: 0A7836FA FF015225
	v_mov_b32_e32 v61, v60                                     // 000000004444: 7E7A033C
	v_pk_fma_f32 v[72:73], v[200:201], v[60:61], v[72:73]      // 000000004448: D3B04048 1D2279C8
	v_pk_fma_f32 v[74:75], v[202:203], v[60:61], v[74:75]      // 000000004450: D3B0404A 1D2A79CA
	v_pk_fma_f32 v[88:89], v[216:217], v[60:61], v[88:89]      // 000000004458: D3B04058 1D6279D8
	v_pk_fma_f32 v[90:91], v[218:219], v[60:61], v[90:91]      // 000000004460: D3B0405A 1D6A79DA
	v_mul_f32_dpp v60, v37, v27 row_newbcast:3 row_mask:0xf bank_mask:0xf// 000000004468: 0A7836FA FF015325
	v_mov_b32_e32 v61, v60                                     // 000000004470: 7E7A033C
	v_pk_fma_f32 v[104:105], v[232:233], v[60:61], v[104:105]  // 000000004474: D3B04068 1DA279E8
	v_pk_fma_f32 v[106:107], v[234:235], v[60:61], v[106:107]  // 00000000447C: D3B0406A 1DAA79EA
	v_pk_fma_f32 v[120:121], v[248:249], v[60:61], v[120:121]  // 000000004484: D3B04078 1DE279F8
	v_pk_fma_f32 v[122:123], v[250:251], v[60:61], v[122:123]  // 00000000448C: D3B0407A 1DEA79FA
	v_mul_f32_dpp v60, v37, v28 row_newbcast:2 row_mask:0xf bank_mask:0xf// 000000004494: 0A7838FA FF015225
	v_mov_b32_e32 v61, v60                                     // 00000000449C: 7E7A033C
	v_pk_fma_f32 v[76:77], v[204:205], v[60:61], v[76:77]      // 0000000044A0: D3B0404C 1D3279CC
	v_pk_fma_f32 v[78:79], v[206:207], v[60:61], v[78:79]      // 0000000044A8: D3B0404E 1D3A79CE
	v_pk_fma_f32 v[92:93], v[220:221], v[60:61], v[92:93]      // 0000000044B0: D3B0405C 1D7279DC
	v_pk_fma_f32 v[94:95], v[222:223], v[60:61], v[94:95]      // 0000000044B8: D3B0405E 1D7A79DE
	v_mul_f32_dpp v60, v37, v28 row_newbcast:3 row_mask:0xf bank_mask:0xf// 0000000044C0: 0A7838FA FF015325
	v_mov_b32_e32 v61, v60                                     // 0000000044C8: 7E7A033C
	v_pk_fma_f32 v[108:109], v[236:237], v[60:61], v[108:109]  // 0000000044CC: D3B0406C 1DB279EC
	v_pk_fma_f32 v[110:111], v[238:239], v[60:61], v[110:111]  // 0000000044D4: D3B0406E 1DBA79EE
	v_pk_fma_f32 v[124:125], v[252:253], v[60:61], v[124:125]  // 0000000044DC: D3B0407C 1DF279FC
	v_pk_fma_f32 v[126:127], v[254:255], v[60:61], v[126:127]  // 0000000044E4: D3B0407E 1DFA79FE
	s_add_u32 s56, 0x100, s76                                  // 0000000044EC: 80384CFF 00000100
	s_cmp_lt_u32 s56, s77                                      // 0000000044F4: BF0A4D38
	s_cselect_b32 s4, s4, 0                                    // 0000000044F8: 85048004
	s_add_u32 s32, s4, s32                                     // 0000000044FC: 80202004
	s_addc_u32 s33, 0, s33                                     // 000000004500: 82212180
	s_waitcnt vmcnt(12)                                        // 000000004504: BF8C0F7C
	s_barrier                                                  // 000000004508: BF8A0000
	v_mfma_f32_16x16x128_f8f6f4 v[192:195], a[64:71], a[128:135], 0// 00000000450C: D3AD00C0 1A030140
	v_mfma_f32_16x16x128_f8f6f4 v[196:199], a[64:71], a[144:151], 0// 000000004514: D3AD00C4 1A032140
	buffer_load_dword v37, v17, s[32:35], 0 offen              // 00000000451C: E0501000 80082511
	buffer_load_dwordx4 a[0:3], v47, s[24:27], 0 offen         // 000000004524: E05C1000 8086002F
	buffer_load_dwordx4 a[4:7], v47, s[24:27], 0 offen offset:1024// 00000000452C: E05C1400 8086042F
	v_mfma_f32_16x16x128_f8f6f4 v[200:203], a[64:71], a[160:167], 0// 000000004534: D3AD00C8 1A034140
	v_mfma_f32_16x16x128_f8f6f4 v[204:207], a[64:71], a[176:183], 0// 00000000453C: D3AD00CC 1A036140
	buffer_load_dwordx4 a[8:11], v48, s[24:27], 0 offen        // 000000004544: E05C1000 80860830
	buffer_load_dwordx4 a[12:15], v48, s[24:27], 0 offen offset:1024// 00000000454C: E05C1400 80860C30
	v_mfma_f32_16x16x128_f8f6f4 v[208:211], a[72:79], a[128:135], 0// 000000004554: D3AD00D0 1A030148
	v_mfma_f32_16x16x128_f8f6f4 v[212:215], a[72:79], a[144:151], 0// 00000000455C: D3AD00D4 1A032148
	buffer_load_dwordx4 a[16:19], v49, s[24:27], 0 offen       // 000000004564: E05C1000 80861031
	buffer_load_dwordx4 a[20:23], v49, s[24:27], 0 offen offset:1024// 00000000456C: E05C1400 80861431
	v_mfma_f32_16x16x128_f8f6f4 v[216:219], a[72:79], a[160:167], 0// 000000004574: D3AD00D8 1A034148
	v_mfma_f32_16x16x128_f8f6f4 v[220:223], a[72:79], a[176:183], 0// 00000000457C: D3AD00DC 1A036148
	buffer_load_dwordx4 a[24:27], v50, s[24:27], 0 offen       // 000000004584: E05C1000 80861832
	buffer_load_dwordx4 a[28:31], v50, s[24:27], 0 offen offset:1024// 00000000458C: E05C1400 80861C32
	s_waitcnt vmcnt(17)                                        // 000000004594: BF8C4F71
	v_mfma_f32_16x16x128_f8f6f4 v[224:227], a[80:87], a[128:135], 0// 000000004598: D3AD00E0 1A030150
	v_mfma_f32_16x16x128_f8f6f4 v[228:231], a[80:87], a[144:151], 0// 0000000045A0: D3AD00E4 1A032150
	buffer_load_dwordx4 a[32:35], v47, s[24:27], 0 offen offset:2048// 0000000045A8: E05C1800 8086202F
	buffer_load_dwordx4 a[36:39], v47, s[24:27], 0 offen offset:3072// 0000000045B0: E05C1C00 8086242F
	v_mfma_f32_16x16x128_f8f6f4 v[232:235], a[80:87], a[160:167], 0// 0000000045B8: D3AD00E8 1A034150
	v_mfma_f32_16x16x128_f8f6f4 v[236:239], a[80:87], a[176:183], 0// 0000000045C0: D3AD00EC 1A036150
	buffer_load_dwordx4 a[40:43], v48, s[24:27], 0 offen offset:2048// 0000000045C8: E05C1800 80862830
	buffer_load_dwordx4 a[44:47], v48, s[24:27], 0 offen offset:3072// 0000000045D0: E05C1C00 80862C30
	v_mfma_f32_16x16x128_f8f6f4 v[240:243], a[88:95], a[128:135], 0// 0000000045D8: D3AD00F0 1A030158
	v_mfma_f32_16x16x128_f8f6f4 v[244:247], a[88:95], a[144:151], 0// 0000000045E0: D3AD00F4 1A032158
	buffer_load_dwordx4 a[48:51], v49, s[24:27], 0 offen offset:2048// 0000000045E8: E05C1800 80863031
	buffer_load_dwordx4 a[52:55], v49, s[24:27], 0 offen offset:3072// 0000000045F0: E05C1C00 80863431
	v_mfma_f32_16x16x128_f8f6f4 v[248:251], a[88:95], a[160:167], 0// 0000000045F8: D3AD00F8 1A034158
	v_mfma_f32_16x16x128_f8f6f4 v[252:255], a[88:95], a[176:183], 0// 000000004600: D3AD00FC 1A036158
	buffer_load_dwordx4 a[56:59], v50, s[24:27], 0 offen offset:2048// 000000004608: E05C1800 80863832
	buffer_load_dwordx4 a[60:63], v50, s[24:27], 0 offen offset:3072// 000000004610: E05C1C00 80863C32
	v_mul_f32_dpp v60, v38, v21 row_newbcast:0 row_mask:0xf bank_mask:0xf// 000000004618: 0A782AFA FF015026
	v_mov_b32_e32 v61, v60                                     // 000000004620: 7E7A033C
	v_pk_fma_f32 v[128:129], v[192:193], v[60:61], v[128:129]  // 000000004624: D3B04080 1E0279C0
	v_pk_fma_f32 v[130:131], v[194:195], v[60:61], v[130:131]  // 00000000462C: D3B04082 1E0A79C2
	v_pk_fma_f32 v[144:145], v[208:209], v[60:61], v[144:145]  // 000000004634: D3B04090 1E4279D0
	v_pk_fma_f32 v[146:147], v[210:211], v[60:61], v[146:147]  // 00000000463C: D3B04092 1E4A79D2
	v_mul_f32_dpp v60, v38, v21 row_newbcast:1 row_mask:0xf bank_mask:0xf// 000000004644: 0A782AFA FF015126
	v_mov_b32_e32 v61, v60                                     // 00000000464C: 7E7A033C
	v_pk_fma_f32 v[160:161], v[224:225], v[60:61], v[160:161]  // 000000004650: D3B040A0 1E8279E0
	v_pk_fma_f32 v[162:163], v[226:227], v[60:61], v[162:163]  // 000000004658: D3B040A2 1E8A79E2
	v_pk_fma_f32 v[176:177], v[240:241], v[60:61], v[176:177]  // 000000004660: D3B040B0 1EC279F0
	v_pk_fma_f32 v[178:179], v[242:243], v[60:61], v[178:179]  // 000000004668: D3B040B2 1ECA79F2
	v_mul_f32_dpp v60, v38, v22 row_newbcast:0 row_mask:0xf bank_mask:0xf// 000000004670: 0A782CFA FF015026
	v_mov_b32_e32 v61, v60                                     // 000000004678: 7E7A033C
	v_pk_fma_f32 v[132:133], v[196:197], v[60:61], v[132:133]  // 00000000467C: D3B04084 1E1279C4
	v_pk_fma_f32 v[134:135], v[198:199], v[60:61], v[134:135]  // 000000004684: D3B04086 1E1A79C6
	v_pk_fma_f32 v[148:149], v[212:213], v[60:61], v[148:149]  // 00000000468C: D3B04094 1E5279D4
	v_pk_fma_f32 v[150:151], v[214:215], v[60:61], v[150:151]  // 000000004694: D3B04096 1E5A79D6
	v_mul_f32_dpp v60, v38, v22 row_newbcast:1 row_mask:0xf bank_mask:0xf// 00000000469C: 0A782CFA FF015126
	v_mov_b32_e32 v61, v60                                     // 0000000046A4: 7E7A033C
	v_pk_fma_f32 v[164:165], v[228:229], v[60:61], v[164:165]  // 0000000046A8: D3B040A4 1E9279E4
	v_pk_fma_f32 v[166:167], v[230:231], v[60:61], v[166:167]  // 0000000046B0: D3B040A6 1E9A79E6
	v_pk_fma_f32 v[180:181], v[244:245], v[60:61], v[180:181]  // 0000000046B8: D3B040B4 1ED279F4
	v_pk_fma_f32 v[182:183], v[246:247], v[60:61], v[182:183]  // 0000000046C0: D3B040B6 1EDA79F6
	v_mul_f32_dpp v60, v38, v23 row_newbcast:0 row_mask:0xf bank_mask:0xf// 0000000046C8: 0A782EFA FF015026
	v_mov_b32_e32 v61, v60                                     // 0000000046D0: 7E7A033C
	v_pk_fma_f32 v[136:137], v[200:201], v[60:61], v[136:137]  // 0000000046D4: D3B04088 1E2279C8
	v_pk_fma_f32 v[138:139], v[202:203], v[60:61], v[138:139]  // 0000000046DC: D3B0408A 1E2A79CA
	v_pk_fma_f32 v[152:153], v[216:217], v[60:61], v[152:153]  // 0000000046E4: D3B04098 1E6279D8
	v_pk_fma_f32 v[154:155], v[218:219], v[60:61], v[154:155]  // 0000000046EC: D3B0409A 1E6A79DA
	v_mul_f32_dpp v60, v38, v23 row_newbcast:1 row_mask:0xf bank_mask:0xf// 0000000046F4: 0A782EFA FF015126
	v_mov_b32_e32 v61, v60                                     // 0000000046FC: 7E7A033C
	v_pk_fma_f32 v[168:169], v[232:233], v[60:61], v[168:169]  // 000000004700: D3B040A8 1EA279E8
	v_pk_fma_f32 v[170:171], v[234:235], v[60:61], v[170:171]  // 000000004708: D3B040AA 1EAA79EA
	v_pk_fma_f32 v[184:185], v[248:249], v[60:61], v[184:185]  // 000000004710: D3B040B8 1EE279F8
	v_pk_fma_f32 v[186:187], v[250:251], v[60:61], v[186:187]  // 000000004718: D3B040BA 1EEA79FA
	v_mul_f32_dpp v60, v38, v24 row_newbcast:0 row_mask:0xf bank_mask:0xf// 000000004720: 0A7830FA FF015026
	v_mov_b32_e32 v61, v60                                     // 000000004728: 7E7A033C
	v_pk_fma_f32 v[140:141], v[204:205], v[60:61], v[140:141]  // 00000000472C: D3B0408C 1E3279CC
	v_pk_fma_f32 v[142:143], v[206:207], v[60:61], v[142:143]  // 000000004734: D3B0408E 1E3A79CE
	v_pk_fma_f32 v[156:157], v[220:221], v[60:61], v[156:157]  // 00000000473C: D3B0409C 1E7279DC
	v_pk_fma_f32 v[158:159], v[222:223], v[60:61], v[158:159]  // 000000004744: D3B0409E 1E7A79DE
	v_mul_f32_dpp v60, v38, v24 row_newbcast:1 row_mask:0xf bank_mask:0xf// 00000000474C: 0A7830FA FF015126
	v_mov_b32_e32 v61, v60                                     // 000000004754: 7E7A033C
	v_pk_fma_f32 v[172:173], v[236:237], v[60:61], v[172:173]  // 000000004758: D3B040AC 1EB279EC
	v_pk_fma_f32 v[174:175], v[238:239], v[60:61], v[174:175]  // 000000004760: D3B040AE 1EBA79EE
	v_pk_fma_f32 v[188:189], v[252:253], v[60:61], v[188:189]  // 000000004768: D3B040BC 1EF279FC
	v_pk_fma_f32 v[190:191], v[254:255], v[60:61], v[190:191]  // 000000004770: D3B040BE 1EFA79FE
	s_waitcnt vmcnt(21)                                        // 000000004778: BF8C4F75
	v_mfma_f32_16x16x128_f8f6f4 v[192:195], a[96:103], a[136:143], 0// 00000000477C: D3AD00C0 1A031160
	ds_read_b128 a[192:195], v2 offset:9472                    // 000000004784: DBFE2500 C0000002
	ds_read_b128 a[196:199], v2 offset:9536                    // 00000000478C: DBFE2540 C4000002
	ds_read_b32 v29, v3 offset:17920                           // 000000004794: D86C4600 1D000003
	ds_read_b32 v30, v3 offset:18176                           // 00000000479C: D86C4700 1E000003
	v_mfma_f32_16x16x128_f8f6f4 v[196:199], a[96:103], a[152:159], 0// 0000000047A4: D3AD00C4 1A033160
	v_mfma_f32_16x16x128_f8f6f4 v[200:203], a[96:103], a[168:175], 0// 0000000047AC: D3AD00C8 1A035160
	ds_read_b128 a[200:203], v2 offset:13696                   // 0000000047B4: DBFE3580 C8000002
	ds_read_b128 a[204:207], v2 offset:13760                   // 0000000047BC: DBFE35C0 CC000002
	ds_read_b32 v31, v3 offset:36864                           // 0000000047C4: D86C9000 1F000003
	ds_read_b32 v32, v3 offset:37120                           // 0000000047CC: D86C9100 20000003
	v_mfma_f32_16x16x128_f8f6f4 v[204:207], a[96:103], a[184:191], 0// 0000000047D4: D3AD00CC 1A037160
	v_mfma_f32_16x16x128_f8f6f4 v[208:211], a[104:111], a[136:143], 0// 0000000047DC: D3AD00D0 1A031168
	ds_read_b128 a[208:211], v2 offset:9984                    // 0000000047E4: DBFE2700 D0000002
	ds_read_b128 a[212:215], v2 offset:10048                   // 0000000047EC: DBFE2740 D4000002
	ds_read_b32 v33, v3 offset:18432                           // 0000000047F4: D86C4800 21000003
	ds_read_b32 v34, v3 offset:18688                           // 0000000047FC: D86C4900 22000003
	v_mfma_f32_16x16x128_f8f6f4 v[212:215], a[104:111], a[152:159], 0// 000000004804: D3AD00D4 1A033168
	v_mfma_f32_16x16x128_f8f6f4 v[216:219], a[104:111], a[168:175], 0// 00000000480C: D3AD00D8 1A035168
	ds_read_b128 a[216:219], v2 offset:14208                   // 000000004814: DBFE3780 D8000002
	ds_read_b128 a[220:223], v2 offset:14272                   // 00000000481C: DBFE37C0 DC000002
	ds_read_b32 v35, v3 offset:37376                           // 000000004824: D86C9200 23000003
	ds_read_b32 v36, v3 offset:37632                           // 00000000482C: D86C9300 24000003
	v_mfma_f32_16x16x128_f8f6f4 v[220:223], a[104:111], a[184:191], 0// 000000004834: D3AD00DC 1A037168
	s_waitcnt vmcnt(17)                                        // 00000000483C: BF8C4F71
	v_mfma_f32_16x16x128_f8f6f4 v[224:227], a[112:119], a[136:143], 0// 000000004840: D3AD00E0 1A031170
	ds_read_b128 a[224:227], v2 offset:28416                   // 000000004848: DBFE6F00 E0000002
	ds_read_b128 a[228:231], v2 offset:28480                   // 000000004850: DBFE6F40 E4000002
	v_mfma_f32_16x16x128_f8f6f4 v[228:231], a[112:119], a[152:159], 0// 000000004858: D3AD00E4 1A033170
	v_mfma_f32_16x16x128_f8f6f4 v[232:235], a[112:119], a[168:175], 0// 000000004860: D3AD00E8 1A035170
	ds_read_b128 a[232:235], v2 offset:32640                   // 000000004868: DBFE7F80 E8000002
	ds_read_b128 a[236:239], v2 offset:32704                   // 000000004870: DBFE7FC0 EC000002
	v_mfma_f32_16x16x128_f8f6f4 v[236:239], a[112:119], a[184:191], 0// 000000004878: D3AD00EC 1A037170
	v_mfma_f32_16x16x128_f8f6f4 v[240:243], a[120:127], a[136:143], 0// 000000004880: D3AD00F0 1A031178
	ds_read_b128 a[240:243], v2 offset:28928                   // 000000004888: DBFE7100 F0000002
	ds_read_b128 a[244:247], v2 offset:28992                   // 000000004890: DBFE7140 F4000002
	v_mfma_f32_16x16x128_f8f6f4 v[244:247], a[120:127], a[152:159], 0// 000000004898: D3AD00F4 1A033178
	v_mfma_f32_16x16x128_f8f6f4 v[248:251], a[120:127], a[168:175], 0// 0000000048A0: D3AD00F8 1A035178
	ds_read_b128 a[248:251], v2 offset:33152                   // 0000000048A8: DBFE8180 F8000002
	ds_read_b128 a[252:255], v2 offset:33216                   // 0000000048B0: DBFE81C0 FC000002
	v_mfma_f32_16x16x128_f8f6f4 v[252:255], a[120:127], a[184:191], 0// 0000000048B8: D3AD00FC 1A037178
	v_mul_f32_dpp v60, v38, v25 row_newbcast:2 row_mask:0xf bank_mask:0xf// 0000000048C0: 0A7832FA FF015226
	v_mov_b32_e32 v61, v60                                     // 0000000048C8: 7E7A033C
	v_pk_fma_f32 v[128:129], v[192:193], v[60:61], v[128:129]  // 0000000048CC: D3B04080 1E0279C0
	v_pk_fma_f32 v[130:131], v[194:195], v[60:61], v[130:131]  // 0000000048D4: D3B04082 1E0A79C2
	v_pk_fma_f32 v[144:145], v[208:209], v[60:61], v[144:145]  // 0000000048DC: D3B04090 1E4279D0
	v_pk_fma_f32 v[146:147], v[210:211], v[60:61], v[146:147]  // 0000000048E4: D3B04092 1E4A79D2
	v_mul_f32_dpp v60, v38, v25 row_newbcast:3 row_mask:0xf bank_mask:0xf// 0000000048EC: 0A7832FA FF015326
	v_mov_b32_e32 v61, v60                                     // 0000000048F4: 7E7A033C
	v_pk_fma_f32 v[160:161], v[224:225], v[60:61], v[160:161]  // 0000000048F8: D3B040A0 1E8279E0
	v_pk_fma_f32 v[162:163], v[226:227], v[60:61], v[162:163]  // 000000004900: D3B040A2 1E8A79E2
	v_pk_fma_f32 v[176:177], v[240:241], v[60:61], v[176:177]  // 000000004908: D3B040B0 1EC279F0
	v_pk_fma_f32 v[178:179], v[242:243], v[60:61], v[178:179]  // 000000004910: D3B040B2 1ECA79F2
	v_mul_f32_dpp v60, v38, v26 row_newbcast:2 row_mask:0xf bank_mask:0xf// 000000004918: 0A7834FA FF015226
	v_mov_b32_e32 v61, v60                                     // 000000004920: 7E7A033C
	v_pk_fma_f32 v[132:133], v[196:197], v[60:61], v[132:133]  // 000000004924: D3B04084 1E1279C4
	v_pk_fma_f32 v[134:135], v[198:199], v[60:61], v[134:135]  // 00000000492C: D3B04086 1E1A79C6
	v_pk_fma_f32 v[148:149], v[212:213], v[60:61], v[148:149]  // 000000004934: D3B04094 1E5279D4
	v_pk_fma_f32 v[150:151], v[214:215], v[60:61], v[150:151]  // 00000000493C: D3B04096 1E5A79D6
	v_mul_f32_dpp v60, v38, v26 row_newbcast:3 row_mask:0xf bank_mask:0xf// 000000004944: 0A7834FA FF015326
	v_mov_b32_e32 v61, v60                                     // 00000000494C: 7E7A033C
	v_pk_fma_f32 v[164:165], v[228:229], v[60:61], v[164:165]  // 000000004950: D3B040A4 1E9279E4
	v_pk_fma_f32 v[166:167], v[230:231], v[60:61], v[166:167]  // 000000004958: D3B040A6 1E9A79E6
	v_pk_fma_f32 v[180:181], v[244:245], v[60:61], v[180:181]  // 000000004960: D3B040B4 1ED279F4
	v_pk_fma_f32 v[182:183], v[246:247], v[60:61], v[182:183]  // 000000004968: D3B040B6 1EDA79F6
	v_mul_f32_dpp v60, v38, v27 row_newbcast:2 row_mask:0xf bank_mask:0xf// 000000004970: 0A7836FA FF015226
	v_mov_b32_e32 v61, v60                                     // 000000004978: 7E7A033C
	v_pk_fma_f32 v[136:137], v[200:201], v[60:61], v[136:137]  // 00000000497C: D3B04088 1E2279C8
	v_pk_fma_f32 v[138:139], v[202:203], v[60:61], v[138:139]  // 000000004984: D3B0408A 1E2A79CA
	v_pk_fma_f32 v[152:153], v[216:217], v[60:61], v[152:153]  // 00000000498C: D3B04098 1E6279D8
	v_pk_fma_f32 v[154:155], v[218:219], v[60:61], v[154:155]  // 000000004994: D3B0409A 1E6A79DA
	v_mul_f32_dpp v60, v38, v27 row_newbcast:3 row_mask:0xf bank_mask:0xf// 00000000499C: 0A7836FA FF015326
	v_mov_b32_e32 v61, v60                                     // 0000000049A4: 7E7A033C
	v_pk_fma_f32 v[168:169], v[232:233], v[60:61], v[168:169]  // 0000000049A8: D3B040A8 1EA279E8
	v_pk_fma_f32 v[170:171], v[234:235], v[60:61], v[170:171]  // 0000000049B0: D3B040AA 1EAA79EA
	v_pk_fma_f32 v[184:185], v[248:249], v[60:61], v[184:185]  // 0000000049B8: D3B040B8 1EE279F8
	v_pk_fma_f32 v[186:187], v[250:251], v[60:61], v[186:187]  // 0000000049C0: D3B040BA 1EEA79FA
	v_mul_f32_dpp v60, v38, v28 row_newbcast:2 row_mask:0xf bank_mask:0xf// 0000000049C8: 0A7838FA FF015226
	v_mov_b32_e32 v61, v60                                     // 0000000049D0: 7E7A033C
	v_pk_fma_f32 v[140:141], v[204:205], v[60:61], v[140:141]  // 0000000049D4: D3B0408C 1E3279CC
	v_pk_fma_f32 v[142:143], v[206:207], v[60:61], v[142:143]  // 0000000049DC: D3B0408E 1E3A79CE
	v_pk_fma_f32 v[156:157], v[220:221], v[60:61], v[156:157]  // 0000000049E4: D3B0409C 1E7279DC
	v_pk_fma_f32 v[158:159], v[222:223], v[60:61], v[158:159]  // 0000000049EC: D3B0409E 1E7A79DE
	v_mul_f32_dpp v60, v38, v28 row_newbcast:3 row_mask:0xf bank_mask:0xf// 0000000049F4: 0A7838FA FF015326
	v_mov_b32_e32 v61, v60                                     // 0000000049FC: 7E7A033C
	v_pk_fma_f32 v[172:173], v[236:237], v[60:61], v[172:173]  // 000000004A00: D3B040AC 1EB279EC
	v_pk_fma_f32 v[174:175], v[238:239], v[60:61], v[174:175]  // 000000004A08: D3B040AE 1EBA79EE
	v_pk_fma_f32 v[188:189], v[252:253], v[60:61], v[188:189]  // 000000004A10: D3B040BC 1EF279FC
	v_pk_fma_f32 v[190:191], v[254:255], v[60:61], v[190:191]  // 000000004A18: D3B040BE 1EFA79FE
	s_add_u32 s56, 0x200, s76                                  // 000000004A20: 80384CFF 00000200
	s_cmp_lt_u32 s56, s77                                      // 000000004A28: BF0A4D38
	s_cselect_b32 s53, s53, 0                                  // 000000004A2C: 85358035
	s_cselect_b32 s3, s3, 0                                    // 000000004A30: 85038003
	s_add_u32 s56, 0x200, s76                                  // 000000004A34: 80384CFF 00000200
	s_cmp_lt_u32 s56, s77                                      // 000000004A3C: BF0A4D38
	s_cselect_b32 s54, s54, 0                                  // 000000004A40: 85368036
	s_add_u32 s20, s53, s20                                    // 000000004A44: 80141435
	s_addc_u32 s21, 0, s21                                     // 000000004A48: 82151580
	s_add_u32 s28, s3, s28                                     // 000000004A4C: 801C1C03
	s_addc_u32 s29, 0, s29                                     // 000000004A50: 821D1D80
	s_add_u32 s24, s54, s24                                    // 000000004A54: 80181836
	s_addc_u32 s25, 0, s25                                     // 000000004A58: 82191980
	s_add_u32 s96, s94, s96                                    // 000000004A5C: 8060605E
	s_addc_u32 s97, 0, s97                                     // 000000004A60: 82616180
	s_addk_i32 s76, 0x100                                      // 000000004A64: B74C0100
	s_cmp_lt_i32 s76, s77                                      // 000000004A68: BF044D4C
	s_cbranch_scc0 label_09AC                                  // 000000004A6C: BF840290
	s_waitcnt vmcnt(12) lgkmcnt(0)                             // 000000004A70: BF8C007C
	s_barrier                                                  // 000000004A74: BF8A0000
	v_mfma_f32_16x16x128_f8f6f4 v[192:195], a[0:7], a[192:199], 0// 000000004A78: D3AD00C0 1A038100
	v_mfma_f32_16x16x128_f8f6f4 v[196:199], a[0:7], a[208:215], 0// 000000004A80: D3AD00C4 1A03A100
	buffer_load_dwordx4 v43, s[20:23], 0 offen lds             // 000000004A88: E05D1000 8005002B
	s_add_u32 m0, 0x1080, s48                                  // 000000004A90: 807C30FF 00001080
	buffer_load_dwordx4 v44, s[20:23], 0 offen lds             // 000000004A98: E05D1000 8005002C
	s_add_u32 m0, 0, s50                                       // 000000004AA0: 807C3280
	buffer_load_dwordx4 v45, s[20:23], 0 offen lds             // 000000004AA4: E05D1000 8005002D
	s_add_u32 m0, 0x1080, s50                                  // 000000004AAC: 807C32FF 00001080
	buffer_load_dwordx4 v46, s[20:23], 0 offen lds             // 000000004AB4: E05D1000 8005002E
	s_add_u32 m0, 0x1080, s48                                  // 000000004ABC: 807C30FF 00001080
	s_add_u32 m0, m0, s72                                      // 000000004AC4: 807C487C
	buffer_load_dword v9, s[28:31], 0 offen lds                // 000000004AC8: E0511000 80070009
	s_add_u32 m0, m0, 0x4a00                                   // 000000004AD0: 807CFF7C 00004A00
	buffer_load_dword v11, s[28:31], 0 offen lds               // 000000004AD8: E0511000 8007000B
	s_add_u32 m0, 0, s49                                       // 000000004AE0: 807C3180
	buffer_load_dword v38, v19, s[32:35], 0 offen              // 000000004AE4: E0501000 80082613
	buffer_load_dwordx4 a[64:67], v47, s[96:99], 0 offen       // 000000004AEC: E05C1000 8098402F
	buffer_load_dwordx4 a[68:71], v47, s[96:99], 0 offen offset:1024// 000000004AF4: E05C1400 8098442F
	v_mfma_f32_16x16x128_f8f6f4 v[200:203], a[0:7], a[224:231], 0// 000000004AFC: D3AD00C8 1A03C100
	v_mfma_f32_16x16x128_f8f6f4 v[204:207], a[0:7], a[240:247], 0// 000000004B04: D3AD00CC 1A03E100
	buffer_load_dwordx4 a[72:75], v48, s[96:99], 0 offen       // 000000004B0C: E05C1000 80984830
	buffer_load_dwordx4 a[76:79], v48, s[96:99], 0 offen offset:1024// 000000004B14: E05C1400 80984C30
	v_mfma_f32_16x16x128_f8f6f4 v[208:211], a[8:15], a[192:199], 0// 000000004B1C: D3AD00D0 1A038108
	v_mfma_f32_16x16x128_f8f6f4 v[212:215], a[8:15], a[208:215], 0// 000000004B24: D3AD00D4 1A03A108
	buffer_load_dwordx4 a[80:83], v49, s[96:99], 0 offen       // 000000004B2C: E05C1000 80985031
	buffer_load_dwordx4 a[84:87], v49, s[96:99], 0 offen offset:1024// 000000004B34: E05C1400 80985431
	v_mfma_f32_16x16x128_f8f6f4 v[216:219], a[8:15], a[224:231], 0// 000000004B3C: D3AD00D8 1A03C108
	v_mfma_f32_16x16x128_f8f6f4 v[220:223], a[8:15], a[240:247], 0// 000000004B44: D3AD00DC 1A03E108
	buffer_load_dwordx4 a[88:91], v50, s[96:99], 0 offen       // 000000004B4C: E05C1000 80985832
	buffer_load_dwordx4 a[92:95], v50, s[96:99], 0 offen offset:1024// 000000004B54: E05C1400 80985C32
	s_waitcnt vmcnt(23)                                        // 000000004B5C: BF8C4F77
	v_mfma_f32_16x16x128_f8f6f4 v[224:227], a[16:23], a[192:199], 0// 000000004B60: D3AD00E0 1A038110
	v_mfma_f32_16x16x128_f8f6f4 v[228:231], a[16:23], a[208:215], 0// 000000004B68: D3AD00E4 1A03A110
	buffer_load_dwordx4 a[96:99], v47, s[96:99], 0 offen offset:2048// 000000004B70: E05C1800 8098602F
	buffer_load_dwordx4 a[100:103], v47, s[96:99], 0 offen offset:3072// 000000004B78: E05C1C00 8098642F
	v_mfma_f32_16x16x128_f8f6f4 v[232:235], a[16:23], a[224:231], 0// 000000004B80: D3AD00E8 1A03C110
	v_mfma_f32_16x16x128_f8f6f4 v[236:239], a[16:23], a[240:247], 0// 000000004B88: D3AD00EC 1A03E110
	buffer_load_dwordx4 a[104:107], v48, s[96:99], 0 offen offset:2048// 000000004B90: E05C1800 80986830
	buffer_load_dwordx4 a[108:111], v48, s[96:99], 0 offen offset:3072// 000000004B98: E05C1C00 80986C30
	v_mfma_f32_16x16x128_f8f6f4 v[240:243], a[24:31], a[192:199], 0// 000000004BA0: D3AD00F0 1A038118
	v_mfma_f32_16x16x128_f8f6f4 v[244:247], a[24:31], a[208:215], 0// 000000004BA8: D3AD00F4 1A03A118
	buffer_load_dwordx4 a[112:115], v49, s[96:99], 0 offen offset:2048// 000000004BB0: E05C1800 80987031
	buffer_load_dwordx4 a[116:119], v49, s[96:99], 0 offen offset:3072// 000000004BB8: E05C1C00 80987431
	v_mfma_f32_16x16x128_f8f6f4 v[248:251], a[24:31], a[224:231], 0// 000000004BC0: D3AD00F8 1A03C118
	v_mfma_f32_16x16x128_f8f6f4 v[252:255], a[24:31], a[240:247], 0// 000000004BC8: D3AD00FC 1A03E118
	buffer_load_dwordx4 a[120:123], v50, s[96:99], 0 offen offset:2048// 000000004BD0: E05C1800 80987832
	buffer_load_dwordx4 a[124:127], v50, s[96:99], 0 offen offset:3072// 000000004BD8: E05C1C00 80987C32
	v_mul_f32_dpp v60, v37, v29 row_newbcast:0 row_mask:0xf bank_mask:0xf// 000000004BE0: 0A783AFA FF015025
	v_mov_b32_e32 v61, v60                                     // 000000004BE8: 7E7A033C
	v_pk_fma_f32 v[64:65], v[192:193], v[60:61], v[64:65]      // 000000004BEC: D3B04040 1D0279C0
	v_pk_fma_f32 v[66:67], v[194:195], v[60:61], v[66:67]      // 000000004BF4: D3B04042 1D0A79C2
	v_pk_fma_f32 v[80:81], v[208:209], v[60:61], v[80:81]      // 000000004BFC: D3B04050 1D4279D0
	v_pk_fma_f32 v[82:83], v[210:211], v[60:61], v[82:83]      // 000000004C04: D3B04052 1D4A79D2
	v_mul_f32_dpp v60, v37, v29 row_newbcast:1 row_mask:0xf bank_mask:0xf// 000000004C0C: 0A783AFA FF015125
	v_mov_b32_e32 v61, v60                                     // 000000004C14: 7E7A033C
	v_pk_fma_f32 v[96:97], v[224:225], v[60:61], v[96:97]      // 000000004C18: D3B04060 1D8279E0
	v_pk_fma_f32 v[98:99], v[226:227], v[60:61], v[98:99]      // 000000004C20: D3B04062 1D8A79E2
	v_pk_fma_f32 v[112:113], v[240:241], v[60:61], v[112:113]  // 000000004C28: D3B04070 1DC279F0
	v_pk_fma_f32 v[114:115], v[242:243], v[60:61], v[114:115]  // 000000004C30: D3B04072 1DCA79F2
	v_mul_f32_dpp v60, v37, v30 row_newbcast:0 row_mask:0xf bank_mask:0xf// 000000004C38: 0A783CFA FF015025
	v_mov_b32_e32 v61, v60                                     // 000000004C40: 7E7A033C
	v_pk_fma_f32 v[68:69], v[196:197], v[60:61], v[68:69]      // 000000004C44: D3B04044 1D1279C4
	v_pk_fma_f32 v[70:71], v[198:199], v[60:61], v[70:71]      // 000000004C4C: D3B04046 1D1A79C6
	v_pk_fma_f32 v[84:85], v[212:213], v[60:61], v[84:85]      // 000000004C54: D3B04054 1D5279D4
	v_pk_fma_f32 v[86:87], v[214:215], v[60:61], v[86:87]      // 000000004C5C: D3B04056 1D5A79D6
	v_mul_f32_dpp v60, v37, v30 row_newbcast:1 row_mask:0xf bank_mask:0xf// 000000004C64: 0A783CFA FF015125
	v_mov_b32_e32 v61, v60                                     // 000000004C6C: 7E7A033C
	v_pk_fma_f32 v[100:101], v[228:229], v[60:61], v[100:101]  // 000000004C70: D3B04064 1D9279E4
	v_pk_fma_f32 v[102:103], v[230:231], v[60:61], v[102:103]  // 000000004C78: D3B04066 1D9A79E6
	v_pk_fma_f32 v[116:117], v[244:245], v[60:61], v[116:117]  // 000000004C80: D3B04074 1DD279F4
	v_pk_fma_f32 v[118:119], v[246:247], v[60:61], v[118:119]  // 000000004C88: D3B04076 1DDA79F6
	v_mul_f32_dpp v60, v37, v31 row_newbcast:0 row_mask:0xf bank_mask:0xf// 000000004C90: 0A783EFA FF015025
	v_mov_b32_e32 v61, v60                                     // 000000004C98: 7E7A033C
	v_pk_fma_f32 v[72:73], v[200:201], v[60:61], v[72:73]      // 000000004C9C: D3B04048 1D2279C8
	v_pk_fma_f32 v[74:75], v[202:203], v[60:61], v[74:75]      // 000000004CA4: D3B0404A 1D2A79CA
	v_pk_fma_f32 v[88:89], v[216:217], v[60:61], v[88:89]      // 000000004CAC: D3B04058 1D6279D8
	v_pk_fma_f32 v[90:91], v[218:219], v[60:61], v[90:91]      // 000000004CB4: D3B0405A 1D6A79DA
	v_mul_f32_dpp v60, v37, v31 row_newbcast:1 row_mask:0xf bank_mask:0xf// 000000004CBC: 0A783EFA FF015125
	v_mov_b32_e32 v61, v60                                     // 000000004CC4: 7E7A033C
	v_pk_fma_f32 v[104:105], v[232:233], v[60:61], v[104:105]  // 000000004CC8: D3B04068 1DA279E8
	v_pk_fma_f32 v[106:107], v[234:235], v[60:61], v[106:107]  // 000000004CD0: D3B0406A 1DAA79EA
	v_pk_fma_f32 v[120:121], v[248:249], v[60:61], v[120:121]  // 000000004CD8: D3B04078 1DE279F8
	v_pk_fma_f32 v[122:123], v[250:251], v[60:61], v[122:123]  // 000000004CE0: D3B0407A 1DEA79FA
	v_mul_f32_dpp v60, v37, v32 row_newbcast:0 row_mask:0xf bank_mask:0xf// 000000004CE8: 0A7840FA FF015025
	v_mov_b32_e32 v61, v60                                     // 000000004CF0: 7E7A033C
	v_pk_fma_f32 v[76:77], v[204:205], v[60:61], v[76:77]      // 000000004CF4: D3B0404C 1D3279CC
	v_pk_fma_f32 v[78:79], v[206:207], v[60:61], v[78:79]      // 000000004CFC: D3B0404E 1D3A79CE
	v_pk_fma_f32 v[92:93], v[220:221], v[60:61], v[92:93]      // 000000004D04: D3B0405C 1D7279DC
	v_pk_fma_f32 v[94:95], v[222:223], v[60:61], v[94:95]      // 000000004D0C: D3B0405E 1D7A79DE
	v_mul_f32_dpp v60, v37, v32 row_newbcast:1 row_mask:0xf bank_mask:0xf// 000000004D14: 0A7840FA FF015125
	v_mov_b32_e32 v61, v60                                     // 000000004D1C: 7E7A033C
	v_pk_fma_f32 v[108:109], v[236:237], v[60:61], v[108:109]  // 000000004D20: D3B0406C 1DB279EC
	v_pk_fma_f32 v[110:111], v[238:239], v[60:61], v[110:111]  // 000000004D28: D3B0406E 1DBA79EE
	v_pk_fma_f32 v[124:125], v[252:253], v[60:61], v[124:125]  // 000000004D30: D3B0407C 1DF279FC
	v_pk_fma_f32 v[126:127], v[254:255], v[60:61], v[126:127]  // 000000004D38: D3B0407E 1DFA79FE
	s_waitcnt vmcnt(27)                                        // 000000004D40: BF8C4F7B
	v_mfma_f32_16x16x128_f8f6f4 v[192:195], a[32:39], a[200:207], 0// 000000004D44: D3AD00C0 1A039120
	v_mfma_f32_16x16x128_f8f6f4 v[196:199], a[32:39], a[216:223], 0// 000000004D4C: D3AD00C4 1A03B120
	v_mfma_f32_16x16x128_f8f6f4 v[200:203], a[32:39], a[232:239], 0// 000000004D54: D3AD00C8 1A03D120
	v_mfma_f32_16x16x128_f8f6f4 v[204:207], a[32:39], a[248:255], 0// 000000004D5C: D3AD00CC 1A03F120
	v_mfma_f32_16x16x128_f8f6f4 v[208:211], a[40:47], a[200:207], 0// 000000004D64: D3AD00D0 1A039128
	v_mfma_f32_16x16x128_f8f6f4 v[212:215], a[40:47], a[216:223], 0// 000000004D6C: D3AD00D4 1A03B128
	v_mfma_f32_16x16x128_f8f6f4 v[216:219], a[40:47], a[232:239], 0// 000000004D74: D3AD00D8 1A03D128
	v_mfma_f32_16x16x128_f8f6f4 v[220:223], a[40:47], a[248:255], 0// 000000004D7C: D3AD00DC 1A03F128
	s_waitcnt vmcnt(23)                                        // 000000004D84: BF8C4F77
	v_mfma_f32_16x16x128_f8f6f4 v[224:227], a[48:55], a[200:207], 0// 000000004D88: D3AD00E0 1A039130
	v_mfma_f32_16x16x128_f8f6f4 v[228:231], a[48:55], a[216:223], 0// 000000004D90: D3AD00E4 1A03B130
	v_mfma_f32_16x16x128_f8f6f4 v[232:235], a[48:55], a[232:239], 0// 000000004D98: D3AD00E8 1A03D130
	v_mfma_f32_16x16x128_f8f6f4 v[236:239], a[48:55], a[248:255], 0// 000000004DA0: D3AD00EC 1A03F130
	v_mfma_f32_16x16x128_f8f6f4 v[240:243], a[56:63], a[200:207], 0// 000000004DA8: D3AD00F0 1A039138
	v_mfma_f32_16x16x128_f8f6f4 v[244:247], a[56:63], a[216:223], 0// 000000004DB0: D3AD00F4 1A03B138
	v_mfma_f32_16x16x128_f8f6f4 v[248:251], a[56:63], a[232:239], 0// 000000004DB8: D3AD00F8 1A03D138
	v_mfma_f32_16x16x128_f8f6f4 v[252:255], a[56:63], a[248:255], 0// 000000004DC0: D3AD00FC 1A03F138
	v_mul_f32_dpp v60, v37, v33 row_newbcast:2 row_mask:0xf bank_mask:0xf// 000000004DC8: 0A7842FA FF015225
	v_mov_b32_e32 v61, v60                                     // 000000004DD0: 7E7A033C
	v_pk_fma_f32 v[64:65], v[192:193], v[60:61], v[64:65]      // 000000004DD4: D3B04040 1D0279C0
	v_pk_fma_f32 v[66:67], v[194:195], v[60:61], v[66:67]      // 000000004DDC: D3B04042 1D0A79C2
	v_pk_fma_f32 v[80:81], v[208:209], v[60:61], v[80:81]      // 000000004DE4: D3B04050 1D4279D0
	v_pk_fma_f32 v[82:83], v[210:211], v[60:61], v[82:83]      // 000000004DEC: D3B04052 1D4A79D2
	v_mul_f32_dpp v60, v37, v33 row_newbcast:3 row_mask:0xf bank_mask:0xf// 000000004DF4: 0A7842FA FF015325
	v_mov_b32_e32 v61, v60                                     // 000000004DFC: 7E7A033C
	v_pk_fma_f32 v[96:97], v[224:225], v[60:61], v[96:97]      // 000000004E00: D3B04060 1D8279E0
	v_pk_fma_f32 v[98:99], v[226:227], v[60:61], v[98:99]      // 000000004E08: D3B04062 1D8A79E2
	v_pk_fma_f32 v[112:113], v[240:241], v[60:61], v[112:113]  // 000000004E10: D3B04070 1DC279F0
	v_pk_fma_f32 v[114:115], v[242:243], v[60:61], v[114:115]  // 000000004E18: D3B04072 1DCA79F2
	v_mul_f32_dpp v60, v37, v34 row_newbcast:2 row_mask:0xf bank_mask:0xf// 000000004E20: 0A7844FA FF015225
	v_mov_b32_e32 v61, v60                                     // 000000004E28: 7E7A033C
	v_pk_fma_f32 v[68:69], v[196:197], v[60:61], v[68:69]      // 000000004E2C: D3B04044 1D1279C4
	v_pk_fma_f32 v[70:71], v[198:199], v[60:61], v[70:71]      // 000000004E34: D3B04046 1D1A79C6
	v_pk_fma_f32 v[84:85], v[212:213], v[60:61], v[84:85]      // 000000004E3C: D3B04054 1D5279D4
	v_pk_fma_f32 v[86:87], v[214:215], v[60:61], v[86:87]      // 000000004E44: D3B04056 1D5A79D6
	v_mul_f32_dpp v60, v37, v34 row_newbcast:3 row_mask:0xf bank_mask:0xf// 000000004E4C: 0A7844FA FF015325
	v_mov_b32_e32 v61, v60                                     // 000000004E54: 7E7A033C
	v_pk_fma_f32 v[100:101], v[228:229], v[60:61], v[100:101]  // 000000004E58: D3B04064 1D9279E4
	v_pk_fma_f32 v[102:103], v[230:231], v[60:61], v[102:103]  // 000000004E60: D3B04066 1D9A79E6
	v_pk_fma_f32 v[116:117], v[244:245], v[60:61], v[116:117]  // 000000004E68: D3B04074 1DD279F4
	v_pk_fma_f32 v[118:119], v[246:247], v[60:61], v[118:119]  // 000000004E70: D3B04076 1DDA79F6
	v_mul_f32_dpp v60, v37, v35 row_newbcast:2 row_mask:0xf bank_mask:0xf// 000000004E78: 0A7846FA FF015225
	v_mov_b32_e32 v61, v60                                     // 000000004E80: 7E7A033C
	v_pk_fma_f32 v[72:73], v[200:201], v[60:61], v[72:73]      // 000000004E84: D3B04048 1D2279C8
	v_pk_fma_f32 v[74:75], v[202:203], v[60:61], v[74:75]      // 000000004E8C: D3B0404A 1D2A79CA
	v_pk_fma_f32 v[88:89], v[216:217], v[60:61], v[88:89]      // 000000004E94: D3B04058 1D6279D8
	v_pk_fma_f32 v[90:91], v[218:219], v[60:61], v[90:91]      // 000000004E9C: D3B0405A 1D6A79DA
	v_mul_f32_dpp v60, v37, v35 row_newbcast:3 row_mask:0xf bank_mask:0xf// 000000004EA4: 0A7846FA FF015325
	v_mov_b32_e32 v61, v60                                     // 000000004EAC: 7E7A033C
	v_pk_fma_f32 v[104:105], v[232:233], v[60:61], v[104:105]  // 000000004EB0: D3B04068 1DA279E8
	v_pk_fma_f32 v[106:107], v[234:235], v[60:61], v[106:107]  // 000000004EB8: D3B0406A 1DAA79EA
	v_pk_fma_f32 v[120:121], v[248:249], v[60:61], v[120:121]  // 000000004EC0: D3B04078 1DE279F8
	v_pk_fma_f32 v[122:123], v[250:251], v[60:61], v[122:123]  // 000000004EC8: D3B0407A 1DEA79FA
	v_mul_f32_dpp v60, v37, v36 row_newbcast:2 row_mask:0xf bank_mask:0xf// 000000004ED0: 0A7848FA FF015225
	v_mov_b32_e32 v61, v60                                     // 000000004ED8: 7E7A033C
	v_pk_fma_f32 v[76:77], v[204:205], v[60:61], v[76:77]      // 000000004EDC: D3B0404C 1D3279CC
	v_pk_fma_f32 v[78:79], v[206:207], v[60:61], v[78:79]      // 000000004EE4: D3B0404E 1D3A79CE
	v_pk_fma_f32 v[92:93], v[220:221], v[60:61], v[92:93]      // 000000004EEC: D3B0405C 1D7279DC
	v_pk_fma_f32 v[94:95], v[222:223], v[60:61], v[94:95]      // 000000004EF4: D3B0405E 1D7A79DE
	v_mul_f32_dpp v60, v37, v36 row_newbcast:3 row_mask:0xf bank_mask:0xf// 000000004EFC: 0A7848FA FF015325
	v_mov_b32_e32 v61, v60                                     // 000000004F04: 7E7A033C
	v_pk_fma_f32 v[108:109], v[236:237], v[60:61], v[108:109]  // 000000004F08: D3B0406C 1DB279EC
	v_pk_fma_f32 v[110:111], v[238:239], v[60:61], v[110:111]  // 000000004F10: D3B0406E 1DBA79EE
	v_pk_fma_f32 v[124:125], v[252:253], v[60:61], v[124:125]  // 000000004F18: D3B0407C 1DF279FC
	v_pk_fma_f32 v[126:127], v[254:255], v[60:61], v[126:127]  // 000000004F20: D3B0407E 1DFA79FE
	s_add_u32 s56, 0x100, s76                                  // 000000004F28: 80384CFF 00000100
	s_cmp_lt_u32 s56, s77                                      // 000000004F30: BF0A4D38
	s_cselect_b32 s4, s4, 0                                    // 000000004F34: 85048004
	s_add_u32 s32, s4, s32                                     // 000000004F38: 80202004
	s_addc_u32 s33, 0, s33                                     // 000000004F3C: 82212180
	s_waitcnt vmcnt(12)                                        // 000000004F40: BF8C0F7C
	s_barrier                                                  // 000000004F44: BF8A0000
	v_mfma_f32_16x16x128_f8f6f4 v[192:195], a[64:71], a[192:199], 0// 000000004F48: D3AD00C0 1A038140
	v_mfma_f32_16x16x128_f8f6f4 v[196:199], a[64:71], a[208:215], 0// 000000004F50: D3AD00C4 1A03A140
	buffer_load_dword v37, v17, s[32:35], 0 offen              // 000000004F58: E0501000 80082511
	buffer_load_dwordx4 a[0:3], v47, s[24:27], 0 offen         // 000000004F60: E05C1000 8086002F
	buffer_load_dwordx4 a[4:7], v47, s[24:27], 0 offen offset:1024// 000000004F68: E05C1400 8086042F
	v_mfma_f32_16x16x128_f8f6f4 v[200:203], a[64:71], a[224:231], 0// 000000004F70: D3AD00C8 1A03C140
	v_mfma_f32_16x16x128_f8f6f4 v[204:207], a[64:71], a[240:247], 0// 000000004F78: D3AD00CC 1A03E140
	buffer_load_dwordx4 a[8:11], v48, s[24:27], 0 offen        // 000000004F80: E05C1000 80860830
	buffer_load_dwordx4 a[12:15], v48, s[24:27], 0 offen offset:1024// 000000004F88: E05C1400 80860C30
	v_mfma_f32_16x16x128_f8f6f4 v[208:211], a[72:79], a[192:199], 0// 000000004F90: D3AD00D0 1A038148
	v_mfma_f32_16x16x128_f8f6f4 v[212:215], a[72:79], a[208:215], 0// 000000004F98: D3AD00D4 1A03A148
	buffer_load_dwordx4 a[16:19], v49, s[24:27], 0 offen       // 000000004FA0: E05C1000 80861031
	buffer_load_dwordx4 a[20:23], v49, s[24:27], 0 offen offset:1024// 000000004FA8: E05C1400 80861431
	v_mfma_f32_16x16x128_f8f6f4 v[216:219], a[72:79], a[224:231], 0// 000000004FB0: D3AD00D8 1A03C148
	v_mfma_f32_16x16x128_f8f6f4 v[220:223], a[72:79], a[240:247], 0// 000000004FB8: D3AD00DC 1A03E148
	buffer_load_dwordx4 a[24:27], v50, s[24:27], 0 offen       // 000000004FC0: E05C1000 80861832
	buffer_load_dwordx4 a[28:31], v50, s[24:27], 0 offen offset:1024// 000000004FC8: E05C1400 80861C32
	s_waitcnt vmcnt(17)                                        // 000000004FD0: BF8C4F71
	v_mfma_f32_16x16x128_f8f6f4 v[224:227], a[80:87], a[192:199], 0// 000000004FD4: D3AD00E0 1A038150
	v_mfma_f32_16x16x128_f8f6f4 v[228:231], a[80:87], a[208:215], 0// 000000004FDC: D3AD00E4 1A03A150
	buffer_load_dwordx4 a[32:35], v47, s[24:27], 0 offen offset:2048// 000000004FE4: E05C1800 8086202F
	buffer_load_dwordx4 a[36:39], v47, s[24:27], 0 offen offset:3072// 000000004FEC: E05C1C00 8086242F
	v_mfma_f32_16x16x128_f8f6f4 v[232:235], a[80:87], a[224:231], 0// 000000004FF4: D3AD00E8 1A03C150
	v_mfma_f32_16x16x128_f8f6f4 v[236:239], a[80:87], a[240:247], 0// 000000004FFC: D3AD00EC 1A03E150
	buffer_load_dwordx4 a[40:43], v48, s[24:27], 0 offen offset:2048// 000000005004: E05C1800 80862830
	buffer_load_dwordx4 a[44:47], v48, s[24:27], 0 offen offset:3072// 00000000500C: E05C1C00 80862C30
	v_mfma_f32_16x16x128_f8f6f4 v[240:243], a[88:95], a[192:199], 0// 000000005014: D3AD00F0 1A038158
	v_mfma_f32_16x16x128_f8f6f4 v[244:247], a[88:95], a[208:215], 0// 00000000501C: D3AD00F4 1A03A158
	buffer_load_dwordx4 a[48:51], v49, s[24:27], 0 offen offset:2048// 000000005024: E05C1800 80863031
	buffer_load_dwordx4 a[52:55], v49, s[24:27], 0 offen offset:3072// 00000000502C: E05C1C00 80863431
	v_mfma_f32_16x16x128_f8f6f4 v[248:251], a[88:95], a[224:231], 0// 000000005034: D3AD00F8 1A03C158
	v_mfma_f32_16x16x128_f8f6f4 v[252:255], a[88:95], a[240:247], 0// 00000000503C: D3AD00FC 1A03E158
	buffer_load_dwordx4 a[56:59], v50, s[24:27], 0 offen offset:2048// 000000005044: E05C1800 80863832
	buffer_load_dwordx4 a[60:63], v50, s[24:27], 0 offen offset:3072// 00000000504C: E05C1C00 80863C32
	v_mul_f32_dpp v60, v38, v29 row_newbcast:0 row_mask:0xf bank_mask:0xf// 000000005054: 0A783AFA FF015026
	v_mov_b32_e32 v61, v60                                     // 00000000505C: 7E7A033C
	v_pk_fma_f32 v[128:129], v[192:193], v[60:61], v[128:129]  // 000000005060: D3B04080 1E0279C0
	v_pk_fma_f32 v[130:131], v[194:195], v[60:61], v[130:131]  // 000000005068: D3B04082 1E0A79C2
	v_pk_fma_f32 v[144:145], v[208:209], v[60:61], v[144:145]  // 000000005070: D3B04090 1E4279D0
	v_pk_fma_f32 v[146:147], v[210:211], v[60:61], v[146:147]  // 000000005078: D3B04092 1E4A79D2
	v_mul_f32_dpp v60, v38, v29 row_newbcast:1 row_mask:0xf bank_mask:0xf// 000000005080: 0A783AFA FF015126
	v_mov_b32_e32 v61, v60                                     // 000000005088: 7E7A033C
	v_pk_fma_f32 v[160:161], v[224:225], v[60:61], v[160:161]  // 00000000508C: D3B040A0 1E8279E0
	v_pk_fma_f32 v[162:163], v[226:227], v[60:61], v[162:163]  // 000000005094: D3B040A2 1E8A79E2
	v_pk_fma_f32 v[176:177], v[240:241], v[60:61], v[176:177]  // 00000000509C: D3B040B0 1EC279F0
	v_pk_fma_f32 v[178:179], v[242:243], v[60:61], v[178:179]  // 0000000050A4: D3B040B2 1ECA79F2
	v_mul_f32_dpp v60, v38, v30 row_newbcast:0 row_mask:0xf bank_mask:0xf// 0000000050AC: 0A783CFA FF015026
	v_mov_b32_e32 v61, v60                                     // 0000000050B4: 7E7A033C
	v_pk_fma_f32 v[132:133], v[196:197], v[60:61], v[132:133]  // 0000000050B8: D3B04084 1E1279C4
	v_pk_fma_f32 v[134:135], v[198:199], v[60:61], v[134:135]  // 0000000050C0: D3B04086 1E1A79C6
	v_pk_fma_f32 v[148:149], v[212:213], v[60:61], v[148:149]  // 0000000050C8: D3B04094 1E5279D4
	v_pk_fma_f32 v[150:151], v[214:215], v[60:61], v[150:151]  // 0000000050D0: D3B04096 1E5A79D6
	v_mul_f32_dpp v60, v38, v30 row_newbcast:1 row_mask:0xf bank_mask:0xf// 0000000050D8: 0A783CFA FF015126
	v_mov_b32_e32 v61, v60                                     // 0000000050E0: 7E7A033C
	v_pk_fma_f32 v[164:165], v[228:229], v[60:61], v[164:165]  // 0000000050E4: D3B040A4 1E9279E4
	v_pk_fma_f32 v[166:167], v[230:231], v[60:61], v[166:167]  // 0000000050EC: D3B040A6 1E9A79E6
	v_pk_fma_f32 v[180:181], v[244:245], v[60:61], v[180:181]  // 0000000050F4: D3B040B4 1ED279F4
	v_pk_fma_f32 v[182:183], v[246:247], v[60:61], v[182:183]  // 0000000050FC: D3B040B6 1EDA79F6
	v_mul_f32_dpp v60, v38, v31 row_newbcast:0 row_mask:0xf bank_mask:0xf// 000000005104: 0A783EFA FF015026
	v_mov_b32_e32 v61, v60                                     // 00000000510C: 7E7A033C
	v_pk_fma_f32 v[136:137], v[200:201], v[60:61], v[136:137]  // 000000005110: D3B04088 1E2279C8
	v_pk_fma_f32 v[138:139], v[202:203], v[60:61], v[138:139]  // 000000005118: D3B0408A 1E2A79CA
	v_pk_fma_f32 v[152:153], v[216:217], v[60:61], v[152:153]  // 000000005120: D3B04098 1E6279D8
	v_pk_fma_f32 v[154:155], v[218:219], v[60:61], v[154:155]  // 000000005128: D3B0409A 1E6A79DA
	v_mul_f32_dpp v60, v38, v31 row_newbcast:1 row_mask:0xf bank_mask:0xf// 000000005130: 0A783EFA FF015126
	v_mov_b32_e32 v61, v60                                     // 000000005138: 7E7A033C
	v_pk_fma_f32 v[168:169], v[232:233], v[60:61], v[168:169]  // 00000000513C: D3B040A8 1EA279E8
	v_pk_fma_f32 v[170:171], v[234:235], v[60:61], v[170:171]  // 000000005144: D3B040AA 1EAA79EA
	v_pk_fma_f32 v[184:185], v[248:249], v[60:61], v[184:185]  // 00000000514C: D3B040B8 1EE279F8
	v_pk_fma_f32 v[186:187], v[250:251], v[60:61], v[186:187]  // 000000005154: D3B040BA 1EEA79FA
	v_mul_f32_dpp v60, v38, v32 row_newbcast:0 row_mask:0xf bank_mask:0xf// 00000000515C: 0A7840FA FF015026
	v_mov_b32_e32 v61, v60                                     // 000000005164: 7E7A033C
	v_pk_fma_f32 v[140:141], v[204:205], v[60:61], v[140:141]  // 000000005168: D3B0408C 1E3279CC
	v_pk_fma_f32 v[142:143], v[206:207], v[60:61], v[142:143]  // 000000005170: D3B0408E 1E3A79CE
	v_pk_fma_f32 v[156:157], v[220:221], v[60:61], v[156:157]  // 000000005178: D3B0409C 1E7279DC
	v_pk_fma_f32 v[158:159], v[222:223], v[60:61], v[158:159]  // 000000005180: D3B0409E 1E7A79DE
	v_mul_f32_dpp v60, v38, v32 row_newbcast:1 row_mask:0xf bank_mask:0xf// 000000005188: 0A7840FA FF015126
	v_mov_b32_e32 v61, v60                                     // 000000005190: 7E7A033C
	v_pk_fma_f32 v[172:173], v[236:237], v[60:61], v[172:173]  // 000000005194: D3B040AC 1EB279EC
	v_pk_fma_f32 v[174:175], v[238:239], v[60:61], v[174:175]  // 00000000519C: D3B040AE 1EBA79EE
	v_pk_fma_f32 v[188:189], v[252:253], v[60:61], v[188:189]  // 0000000051A4: D3B040BC 1EF279FC
	v_pk_fma_f32 v[190:191], v[254:255], v[60:61], v[190:191]  // 0000000051AC: D3B040BE 1EFA79FE
	s_waitcnt vmcnt(21)                                        // 0000000051B4: BF8C4F75
	v_mfma_f32_16x16x128_f8f6f4 v[192:195], a[96:103], a[200:207], 0// 0000000051B8: D3AD00C0 1A039160
	ds_read_b128 a[128:131], v2                                // 0000000051C0: DBFE0000 80000002
	ds_read_b128 a[132:135], v2 offset:64                      // 0000000051C8: DBFE0040 84000002
	ds_read_b32 v21, v3 offset:8448                            // 0000000051D0: D86C2100 15000003
	ds_read_b32 v22, v3 offset:8704                            // 0000000051D8: D86C2200 16000003
	v_mfma_f32_16x16x128_f8f6f4 v[196:199], a[96:103], a[216:223], 0// 0000000051E0: D3AD00C4 1A03B160
	v_mfma_f32_16x16x128_f8f6f4 v[200:203], a[96:103], a[232:239], 0// 0000000051E8: D3AD00C8 1A03D160
	ds_read_b128 a[136:139], v2 offset:4224                    // 0000000051F0: DBFE1080 88000002
	ds_read_b128 a[140:143], v2 offset:4288                    // 0000000051F8: DBFE10C0 8C000002
	ds_read_b32 v23, v3 offset:27392                           // 000000005200: D86C6B00 17000003
	ds_read_b32 v24, v3 offset:27648                           // 000000005208: D86C6C00 18000003
	v_mfma_f32_16x16x128_f8f6f4 v[204:207], a[96:103], a[248:255], 0// 000000005210: D3AD00CC 1A03F160
	v_mfma_f32_16x16x128_f8f6f4 v[208:211], a[104:111], a[200:207], 0// 000000005218: D3AD00D0 1A039168
	ds_read_b128 a[144:147], v2 offset:512                     // 000000005220: DBFE0200 90000002
	ds_read_b128 a[148:151], v2 offset:576                     // 000000005228: DBFE0240 94000002
	ds_read_b32 v25, v3 offset:8960                            // 000000005230: D86C2300 19000003
	ds_read_b32 v26, v3 offset:9216                            // 000000005238: D86C2400 1A000003
	v_mfma_f32_16x16x128_f8f6f4 v[212:215], a[104:111], a[216:223], 0// 000000005240: D3AD00D4 1A03B168
	v_mfma_f32_16x16x128_f8f6f4 v[216:219], a[104:111], a[232:239], 0// 000000005248: D3AD00D8 1A03D168
	ds_read_b128 a[152:155], v2 offset:4736                    // 000000005250: DBFE1280 98000002
	ds_read_b128 a[156:159], v2 offset:4800                    // 000000005258: DBFE12C0 9C000002
	ds_read_b32 v27, v3 offset:27904                           // 000000005260: D86C6D00 1B000003
	ds_read_b32 v28, v3 offset:28160                           // 000000005268: D86C6E00 1C000003
	v_mfma_f32_16x16x128_f8f6f4 v[220:223], a[104:111], a[248:255], 0// 000000005270: D3AD00DC 1A03F168
	s_waitcnt vmcnt(17)                                        // 000000005278: BF8C4F71
	v_mfma_f32_16x16x128_f8f6f4 v[224:227], a[112:119], a[200:207], 0// 00000000527C: D3AD00E0 1A039170
	ds_read_b128 a[160:163], v2 offset:18944                   // 000000005284: DBFE4A00 A0000002
	ds_read_b128 a[164:167], v2 offset:19008                   // 00000000528C: DBFE4A40 A4000002
	v_mfma_f32_16x16x128_f8f6f4 v[228:231], a[112:119], a[216:223], 0// 000000005294: D3AD00E4 1A03B170
	v_mfma_f32_16x16x128_f8f6f4 v[232:235], a[112:119], a[232:239], 0// 00000000529C: D3AD00E8 1A03D170
	ds_read_b128 a[168:171], v2 offset:23168                   // 0000000052A4: DBFE5A80 A8000002
	ds_read_b128 a[172:175], v2 offset:23232                   // 0000000052AC: DBFE5AC0 AC000002
	v_mfma_f32_16x16x128_f8f6f4 v[236:239], a[112:119], a[248:255], 0// 0000000052B4: D3AD00EC 1A03F170
	v_mfma_f32_16x16x128_f8f6f4 v[240:243], a[120:127], a[200:207], 0// 0000000052BC: D3AD00F0 1A039178
	ds_read_b128 a[176:179], v2 offset:19456                   // 0000000052C4: DBFE4C00 B0000002
	ds_read_b128 a[180:183], v2 offset:19520                   // 0000000052CC: DBFE4C40 B4000002
	v_mfma_f32_16x16x128_f8f6f4 v[244:247], a[120:127], a[216:223], 0// 0000000052D4: D3AD00F4 1A03B178
	v_mfma_f32_16x16x128_f8f6f4 v[248:251], a[120:127], a[232:239], 0// 0000000052DC: D3AD00F8 1A03D178
	ds_read_b128 a[184:187], v2 offset:23680                   // 0000000052E4: DBFE5C80 B8000002
	ds_read_b128 a[188:191], v2 offset:23744                   // 0000000052EC: DBFE5CC0 BC000002
	v_mfma_f32_16x16x128_f8f6f4 v[252:255], a[120:127], a[248:255], 0// 0000000052F4: D3AD00FC 1A03F178
	v_mul_f32_dpp v60, v38, v33 row_newbcast:2 row_mask:0xf bank_mask:0xf// 0000000052FC: 0A7842FA FF015226
	v_mov_b32_e32 v61, v60                                     // 000000005304: 7E7A033C
	v_pk_fma_f32 v[128:129], v[192:193], v[60:61], v[128:129]  // 000000005308: D3B04080 1E0279C0
	v_pk_fma_f32 v[130:131], v[194:195], v[60:61], v[130:131]  // 000000005310: D3B04082 1E0A79C2
	v_pk_fma_f32 v[144:145], v[208:209], v[60:61], v[144:145]  // 000000005318: D3B04090 1E4279D0
	v_pk_fma_f32 v[146:147], v[210:211], v[60:61], v[146:147]  // 000000005320: D3B04092 1E4A79D2
	v_mul_f32_dpp v60, v38, v33 row_newbcast:3 row_mask:0xf bank_mask:0xf// 000000005328: 0A7842FA FF015326
	v_mov_b32_e32 v61, v60                                     // 000000005330: 7E7A033C
	v_pk_fma_f32 v[160:161], v[224:225], v[60:61], v[160:161]  // 000000005334: D3B040A0 1E8279E0
	v_pk_fma_f32 v[162:163], v[226:227], v[60:61], v[162:163]  // 00000000533C: D3B040A2 1E8A79E2
	v_pk_fma_f32 v[176:177], v[240:241], v[60:61], v[176:177]  // 000000005344: D3B040B0 1EC279F0
	v_pk_fma_f32 v[178:179], v[242:243], v[60:61], v[178:179]  // 00000000534C: D3B040B2 1ECA79F2
	v_mul_f32_dpp v60, v38, v34 row_newbcast:2 row_mask:0xf bank_mask:0xf// 000000005354: 0A7844FA FF015226
	v_mov_b32_e32 v61, v60                                     // 00000000535C: 7E7A033C
	v_pk_fma_f32 v[132:133], v[196:197], v[60:61], v[132:133]  // 000000005360: D3B04084 1E1279C4
	v_pk_fma_f32 v[134:135], v[198:199], v[60:61], v[134:135]  // 000000005368: D3B04086 1E1A79C6
	v_pk_fma_f32 v[148:149], v[212:213], v[60:61], v[148:149]  // 000000005370: D3B04094 1E5279D4
	v_pk_fma_f32 v[150:151], v[214:215], v[60:61], v[150:151]  // 000000005378: D3B04096 1E5A79D6
	v_mul_f32_dpp v60, v38, v34 row_newbcast:3 row_mask:0xf bank_mask:0xf// 000000005380: 0A7844FA FF015326
	v_mov_b32_e32 v61, v60                                     // 000000005388: 7E7A033C
	v_pk_fma_f32 v[164:165], v[228:229], v[60:61], v[164:165]  // 00000000538C: D3B040A4 1E9279E4
	v_pk_fma_f32 v[166:167], v[230:231], v[60:61], v[166:167]  // 000000005394: D3B040A6 1E9A79E6
	v_pk_fma_f32 v[180:181], v[244:245], v[60:61], v[180:181]  // 00000000539C: D3B040B4 1ED279F4
	v_pk_fma_f32 v[182:183], v[246:247], v[60:61], v[182:183]  // 0000000053A4: D3B040B6 1EDA79F6
	v_mul_f32_dpp v60, v38, v35 row_newbcast:2 row_mask:0xf bank_mask:0xf// 0000000053AC: 0A7846FA FF015226
	v_mov_b32_e32 v61, v60                                     // 0000000053B4: 7E7A033C
	v_pk_fma_f32 v[136:137], v[200:201], v[60:61], v[136:137]  // 0000000053B8: D3B04088 1E2279C8
	v_pk_fma_f32 v[138:139], v[202:203], v[60:61], v[138:139]  // 0000000053C0: D3B0408A 1E2A79CA
	v_pk_fma_f32 v[152:153], v[216:217], v[60:61], v[152:153]  // 0000000053C8: D3B04098 1E6279D8
	v_pk_fma_f32 v[154:155], v[218:219], v[60:61], v[154:155]  // 0000000053D0: D3B0409A 1E6A79DA
	v_mul_f32_dpp v60, v38, v35 row_newbcast:3 row_mask:0xf bank_mask:0xf// 0000000053D8: 0A7846FA FF015326
	v_mov_b32_e32 v61, v60                                     // 0000000053E0: 7E7A033C
	v_pk_fma_f32 v[168:169], v[232:233], v[60:61], v[168:169]  // 0000000053E4: D3B040A8 1EA279E8
	v_pk_fma_f32 v[170:171], v[234:235], v[60:61], v[170:171]  // 0000000053EC: D3B040AA 1EAA79EA
	v_pk_fma_f32 v[184:185], v[248:249], v[60:61], v[184:185]  // 0000000053F4: D3B040B8 1EE279F8
	v_pk_fma_f32 v[186:187], v[250:251], v[60:61], v[186:187]  // 0000000053FC: D3B040BA 1EEA79FA
	v_mul_f32_dpp v60, v38, v36 row_newbcast:2 row_mask:0xf bank_mask:0xf// 000000005404: 0A7848FA FF015226
	v_mov_b32_e32 v61, v60                                     // 00000000540C: 7E7A033C
	v_pk_fma_f32 v[140:141], v[204:205], v[60:61], v[140:141]  // 000000005410: D3B0408C 1E3279CC
	v_pk_fma_f32 v[142:143], v[206:207], v[60:61], v[142:143]  // 000000005418: D3B0408E 1E3A79CE
	v_pk_fma_f32 v[156:157], v[220:221], v[60:61], v[156:157]  // 000000005420: D3B0409C 1E7279DC
	v_pk_fma_f32 v[158:159], v[222:223], v[60:61], v[158:159]  // 000000005428: D3B0409E 1E7A79DE
	v_mul_f32_dpp v60, v38, v36 row_newbcast:3 row_mask:0xf bank_mask:0xf// 000000005430: 0A7848FA FF015326
	v_mov_b32_e32 v61, v60                                     // 000000005438: 7E7A033C
	v_pk_fma_f32 v[172:173], v[236:237], v[60:61], v[172:173]  // 00000000543C: D3B040AC 1EB279EC
	v_pk_fma_f32 v[174:175], v[238:239], v[60:61], v[174:175]  // 000000005444: D3B040AE 1EBA79EE
	v_pk_fma_f32 v[188:189], v[252:253], v[60:61], v[188:189]  // 00000000544C: D3B040BC 1EF279FC
	v_pk_fma_f32 v[190:191], v[254:255], v[60:61], v[190:191]  // 000000005454: D3B040BE 1EFA79FE
	s_add_u32 s56, 0x200, s76                                  // 00000000545C: 80384CFF 00000200
	s_cmp_lt_u32 s56, s77                                      // 000000005464: BF0A4D38
	s_cselect_b32 s53, s53, 0                                  // 000000005468: 85358035
	s_cselect_b32 s3, s3, 0                                    // 00000000546C: 85038003
	s_add_u32 s56, 0x200, s76                                  // 000000005470: 80384CFF 00000200
	s_cmp_lt_u32 s56, s77                                      // 000000005478: BF0A4D38
	s_cselect_b32 s54, s54, 0                                  // 00000000547C: 85368036
	s_add_u32 s20, s53, s20                                    // 000000005480: 80141435
	s_addc_u32 s21, 0, s21                                     // 000000005484: 82151580
	s_add_u32 s28, s3, s28                                     // 000000005488: 801C1C03
	s_addc_u32 s29, 0, s29                                     // 00000000548C: 821D1D80
	s_add_u32 s24, s54, s24                                    // 000000005490: 80181836
	s_addc_u32 s25, 0, s25                                     // 000000005494: 82191980
	s_add_u32 s96, s94, s96                                    // 000000005498: 8060605E
	s_addc_u32 s97, 0, s97                                     // 00000000549C: 82616180
	s_addk_i32 s76, 0x100                                      // 0000000054A0: B74C0100
	s_cmp_lt_i32 s76, s77                                      // 0000000054A4: BF044D4C
	s_cbranch_scc0 label_09AC                                  // 0000000054A8: BF840001
	s_branch label_048D                                        // 0000000054AC: BF82FAE1

00000000000054b0 <label_09AC>:
	s_mov_b32 s20, 0                                           // 0000000054B0: BE940080
	s_cmp_lt_u32 s93, s62                                      // 0000000054B4: BF0A3E5D
	s_cselect_b32 s56, 0, 1                                    // 0000000054B8: 85388180
	s_lshl1_add_u32 s20, s20, s56                              // 0000000054BC: 97143814
	s_cmp_lt_u32 s92, s62                                      // 0000000054C0: BF0A3E5C
	s_cselect_b32 s56, 0, 1                                    // 0000000054C4: 85388180
	s_lshl1_add_u32 s20, s20, s56                              // 0000000054C8: 97143814
	s_cmp_lt_u32 s91, s62                                      // 0000000054CC: BF0A3E5B
	s_cselect_b32 s56, 0, 1                                    // 0000000054D0: 85388180
	s_lshl1_add_u32 s20, s20, s56                              // 0000000054D4: 97143814
	s_cmp_lt_u32 s90, s62                                      // 0000000054D8: BF0A3E5A
	s_cselect_b32 s56, 0, 1                                    // 0000000054DC: 85388180
	s_lshl1_add_u32 s20, s20, s56                              // 0000000054E0: 97143814
	s_cmp_lt_u32 s89, s62                                      // 0000000054E4: BF0A3E59
	s_cselect_b32 s56, 0, 1                                    // 0000000054E8: 85388180
	s_lshl1_add_u32 s20, s20, s56                              // 0000000054EC: 97143814
	s_cmp_lt_u32 s88, s62                                      // 0000000054F0: BF0A3E58
	s_cselect_b32 s56, 0, 1                                    // 0000000054F4: 85388180
	s_lshl1_add_u32 s20, s20, s56                              // 0000000054F8: 97143814
	s_cmp_lt_u32 s87, s62                                      // 0000000054FC: BF0A3E57
	s_cselect_b32 s56, 0, 1                                    // 000000005500: 85388180
	s_lshl1_add_u32 s20, s20, s56                              // 000000005504: 97143814
	s_cmp_lt_u32 s86, s62                                      // 000000005508: BF0A3E56
	s_cselect_b32 s56, 0, 1                                    // 00000000550C: 85388180
	s_lshl1_add_u32 s20, s20, s56                              // 000000005510: 97143814
	s_cmp_lt_u32 s85, s62                                      // 000000005514: BF0A3E55
	s_cselect_b32 s56, 0, 1                                    // 000000005518: 85388180
	s_lshl1_add_u32 s20, s20, s56                              // 00000000551C: 97143814
	s_cmp_lt_u32 s84, s62                                      // 000000005520: BF0A3E54
	s_cselect_b32 s56, 0, 1                                    // 000000005524: 85388180
	s_lshl1_add_u32 s20, s20, s56                              // 000000005528: 97143814
	s_cmp_lt_u32 s83, s62                                      // 00000000552C: BF0A3E53
	s_cselect_b32 s56, 0, 1                                    // 000000005530: 85388180
	s_lshl1_add_u32 s20, s20, s56                              // 000000005534: 97143814
	s_cmp_lt_u32 s82, s62                                      // 000000005538: BF0A3E52
	s_cselect_b32 s56, 0, 1                                    // 00000000553C: 85388180
	s_lshl1_add_u32 s20, s20, s56                              // 000000005540: 97143814
	s_cmp_lt_u32 s81, s62                                      // 000000005544: BF0A3E51
	s_cselect_b32 s56, 0, 1                                    // 000000005548: 85388180
	s_lshl1_add_u32 s20, s20, s56                              // 00000000554C: 97143814
	s_cmp_lt_u32 s80, s62                                      // 000000005550: BF0A3E50
	s_cselect_b32 s56, 0, 1                                    // 000000005554: 85388180
	s_lshl1_add_u32 s20, s20, s56                              // 000000005558: 97143814
	s_cmp_lt_u32 s79, s62                                      // 00000000555C: BF0A3E4F
	s_cselect_b32 s56, 0, 1                                    // 000000005560: 85388180
	s_lshl1_add_u32 s20, s20, s56                              // 000000005564: 97143814
	s_cmp_lt_u32 s78, s62                                      // 000000005568: BF0A3E4E
	s_cselect_b32 s56, 0, 1                                    // 00000000556C: 85388180
	s_lshl1_add_u32 s20, s20, s56                              // 000000005570: 97143814
	s_waitcnt vmcnt(12)                                        // 000000005574: BF8C0F7C
	buffer_load_dwordx4 a[0:3], v51, s[12:15], 0 offen         // 000000005578: E05C1000 80830033
	v_mul_f32_e32 v60, v64, v64                                // 000000005580: 0A788140
	v_mul_f32_e32 v61, v65, v65                                // 000000005584: 0A7A8341
	v_mul_f32_e32 v62, v66, v66                                // 000000005588: 0A7C8542
	v_mul_f32_e32 v63, v67, v67                                // 00000000558C: 0A7E8743
	s_mov_b32 s3, 0xbd92220c                                   // 000000005590: BE8300FF BD92220C
	v_fma_f32 v60, v60, s3, v1                                 // 000000005598: D1CB003C 0404073C
	v_fma_f32 v61, v61, s3, v1                                 // 0000000055A0: D1CB003D 0404073D
	v_fma_f32 v62, v62, s3, v1                                 // 0000000055A8: D1CB003E 0404073E
	v_fma_f32 v63, v63, s3, v1                                 // 0000000055B0: D1CB003F 0404073F
	v_mul_f32_e32 v60, v60, v64                                // 0000000055B8: 0A78813C
	v_mul_f32_e32 v61, v61, v65                                // 0000000055BC: 0A7A833D
	v_mul_f32_e32 v62, v62, v66                                // 0000000055C0: 0A7C853E
	v_mul_f32_e32 v63, v63, v67                                // 0000000055C4: 0A7E873F
	v_mul_f32_e64 v60, v60, s6                                 // 0000000055C8: D105003C 00000D3C
	v_mul_f32_e64 v61, v61, s6                                 // 0000000055D0: D105003D 00000D3D
	v_mul_f32_e64 v62, v62, s6                                 // 0000000055D8: D105003E 00000D3E
	v_mul_f32_e64 v63, v63, s6                                 // 0000000055E0: D105003F 00000D3F
	v_exp_f32_e32 v60, v60                                     // 0000000055E8: 7E78413C
	v_exp_f32_e32 v61, v61                                     // 0000000055EC: 7E7A413D
	v_exp_f32_e32 v62, v62                                     // 0000000055F0: 7E7C413E
	v_exp_f32_e32 v63, v63                                     // 0000000055F4: 7E7E413F
	buffer_load_dwordx4 a[4:7], v51, s[12:15], 0 offen offset:1024// 0000000055F8: E05C1400 80830433
	v_add_f32_e64 v60, v60, 1.0                                // 000000005600: D101003C 0001E53C
	v_add_f32_e64 v61, v61, 1.0                                // 000000005608: D101003D 0001E53D
	v_add_f32_e64 v62, v62, 1.0                                // 000000005610: D101003E 0001E53E
	v_add_f32_e64 v63, v63, 1.0                                // 000000005618: D101003F 0001E53F
	v_rcp_f32_e32 v60, v60                                     // 000000005620: 7E78453C
	v_rcp_f32_e32 v61, v61                                     // 000000005624: 7E7A453D
	v_rcp_f32_e32 v62, v62                                     // 000000005628: 7E7C453E
	v_rcp_f32_e32 v63, v63                                     // 00000000562C: 7E7E453F
	v_mul_f32_e32 v64, v64, v60                                // 000000005630: 0A807940
	v_mul_f32_e32 v65, v65, v61                                // 000000005634: 0A827B41
	v_mul_f32_e32 v66, v66, v62                                // 000000005638: 0A847D42
	v_mul_f32_e32 v67, v67, v63                                // 00000000563C: 0A867F43
	v_mul_f32_e32 v64, v64, v128                               // 000000005640: 0A810140
	v_mul_f32_e32 v65, v65, v129                               // 000000005644: 0A830341
	v_mul_f32_e32 v66, v66, v130                               // 000000005648: 0A850542
	v_mul_f32_e32 v67, v67, v131                               // 00000000564C: 0A870743
	buffer_load_dwordx4 a[8:11], v52, s[12:15], 0 offen        // 000000005650: E05C1000 80830834
	v_mul_f32_e32 v60, v68, v68                                // 000000005658: 0A788944
	v_mul_f32_e32 v61, v69, v69                                // 00000000565C: 0A7A8B45
	v_mul_f32_e32 v62, v70, v70                                // 000000005660: 0A7C8D46
	v_mul_f32_e32 v63, v71, v71                                // 000000005664: 0A7E8F47
	s_mov_b32 s3, 0xbd92220c                                   // 000000005668: BE8300FF BD92220C
	v_fma_f32 v60, v60, s3, v1                                 // 000000005670: D1CB003C 0404073C
	v_fma_f32 v61, v61, s3, v1                                 // 000000005678: D1CB003D 0404073D
	v_fma_f32 v62, v62, s3, v1                                 // 000000005680: D1CB003E 0404073E
	v_fma_f32 v63, v63, s3, v1                                 // 000000005688: D1CB003F 0404073F
	v_mul_f32_e32 v60, v60, v68                                // 000000005690: 0A78893C
	v_mul_f32_e32 v61, v61, v69                                // 000000005694: 0A7A8B3D
	v_mul_f32_e32 v62, v62, v70                                // 000000005698: 0A7C8D3E
	v_mul_f32_e32 v63, v63, v71                                // 00000000569C: 0A7E8F3F
	v_mul_f32_e64 v60, v60, s6                                 // 0000000056A0: D105003C 00000D3C
	v_mul_f32_e64 v61, v61, s6                                 // 0000000056A8: D105003D 00000D3D
	v_mul_f32_e64 v62, v62, s6                                 // 0000000056B0: D105003E 00000D3E
	v_mul_f32_e64 v63, v63, s6                                 // 0000000056B8: D105003F 00000D3F
	v_exp_f32_e32 v60, v60                                     // 0000000056C0: 7E78413C
	v_exp_f32_e32 v61, v61                                     // 0000000056C4: 7E7A413D
	v_exp_f32_e32 v62, v62                                     // 0000000056C8: 7E7C413E
	v_exp_f32_e32 v63, v63                                     // 0000000056CC: 7E7E413F
	buffer_load_dwordx4 a[12:15], v52, s[12:15], 0 offen offset:1024// 0000000056D0: E05C1400 80830C34
	v_add_f32_e64 v60, v60, 1.0                                // 0000000056D8: D101003C 0001E53C
	v_add_f32_e64 v61, v61, 1.0                                // 0000000056E0: D101003D 0001E53D
	v_add_f32_e64 v62, v62, 1.0                                // 0000000056E8: D101003E 0001E53E
	v_add_f32_e64 v63, v63, 1.0                                // 0000000056F0: D101003F 0001E53F
	v_rcp_f32_e32 v60, v60                                     // 0000000056F8: 7E78453C
	v_rcp_f32_e32 v61, v61                                     // 0000000056FC: 7E7A453D
	v_rcp_f32_e32 v62, v62                                     // 000000005700: 7E7C453E
	v_rcp_f32_e32 v63, v63                                     // 000000005704: 7E7E453F
	v_mul_f32_e32 v68, v68, v60                                // 000000005708: 0A887944
	v_mul_f32_e32 v69, v69, v61                                // 00000000570C: 0A8A7B45
	v_mul_f32_e32 v70, v70, v62                                // 000000005710: 0A8C7D46
	v_mul_f32_e32 v71, v71, v63                                // 000000005714: 0A8E7F47
	v_mul_f32_e32 v68, v68, v132                               // 000000005718: 0A890944
	v_mul_f32_e32 v69, v69, v133                               // 00000000571C: 0A8B0B45
	v_mul_f32_e32 v70, v70, v134                               // 000000005720: 0A8D0D46
	v_mul_f32_e32 v71, v71, v135                               // 000000005724: 0A8F0F47
	s_waitcnt vmcnt(12)                                        // 000000005728: BF8C0F7C
	buffer_load_dwordx4 a[16:19], v53, s[12:15], 0 offen       // 00000000572C: E05C1000 80831035
	v_mul_f32_e32 v60, v72, v72                                // 000000005734: 0A789148
	v_mul_f32_e32 v61, v73, v73                                // 000000005738: 0A7A9349
	v_mul_f32_e32 v62, v74, v74                                // 00000000573C: 0A7C954A
	v_mul_f32_e32 v63, v75, v75                                // 000000005740: 0A7E974B
	s_mov_b32 s3, 0xbd92220c                                   // 000000005744: BE8300FF BD92220C
	v_fma_f32 v60, v60, s3, v1                                 // 00000000574C: D1CB003C 0404073C
	v_fma_f32 v61, v61, s3, v1                                 // 000000005754: D1CB003D 0404073D
	v_fma_f32 v62, v62, s3, v1                                 // 00000000575C: D1CB003E 0404073E
	v_fma_f32 v63, v63, s3, v1                                 // 000000005764: D1CB003F 0404073F
	v_mul_f32_e32 v60, v60, v72                                // 00000000576C: 0A78913C
	v_mul_f32_e32 v61, v61, v73                                // 000000005770: 0A7A933D
	v_mul_f32_e32 v62, v62, v74                                // 000000005774: 0A7C953E
	v_mul_f32_e32 v63, v63, v75                                // 000000005778: 0A7E973F
	v_mul_f32_e64 v60, v60, s6                                 // 00000000577C: D105003C 00000D3C
	v_mul_f32_e64 v61, v61, s6                                 // 000000005784: D105003D 00000D3D
	v_mul_f32_e64 v62, v62, s6                                 // 00000000578C: D105003E 00000D3E
	v_mul_f32_e64 v63, v63, s6                                 // 000000005794: D105003F 00000D3F
	v_exp_f32_e32 v60, v60                                     // 00000000579C: 7E78413C
	v_exp_f32_e32 v61, v61                                     // 0000000057A0: 7E7A413D
	v_exp_f32_e32 v62, v62                                     // 0000000057A4: 7E7C413E
	v_exp_f32_e32 v63, v63                                     // 0000000057A8: 7E7E413F
	buffer_load_dwordx4 a[20:23], v53, s[12:15], 0 offen offset:1024// 0000000057AC: E05C1400 80831435
	v_add_f32_e64 v60, v60, 1.0                                // 0000000057B4: D101003C 0001E53C
	v_add_f32_e64 v61, v61, 1.0                                // 0000000057BC: D101003D 0001E53D
	v_add_f32_e64 v62, v62, 1.0                                // 0000000057C4: D101003E 0001E53E
	v_add_f32_e64 v63, v63, 1.0                                // 0000000057CC: D101003F 0001E53F
	v_rcp_f32_e32 v60, v60                                     // 0000000057D4: 7E78453C
	v_rcp_f32_e32 v61, v61                                     // 0000000057D8: 7E7A453D
	v_rcp_f32_e32 v62, v62                                     // 0000000057DC: 7E7C453E
	v_rcp_f32_e32 v63, v63                                     // 0000000057E0: 7E7E453F
	v_mul_f32_e32 v72, v72, v60                                // 0000000057E4: 0A907948
	v_mul_f32_e32 v73, v73, v61                                // 0000000057E8: 0A927B49
	v_mul_f32_e32 v74, v74, v62                                // 0000000057EC: 0A947D4A
	v_mul_f32_e32 v75, v75, v63                                // 0000000057F0: 0A967F4B
	v_mul_f32_e32 v72, v72, v136                               // 0000000057F4: 0A911148
	v_mul_f32_e32 v73, v73, v137                               // 0000000057F8: 0A931349
	v_mul_f32_e32 v74, v74, v138                               // 0000000057FC: 0A95154A
	v_mul_f32_e32 v75, v75, v139                               // 000000005800: 0A97174B
	buffer_load_dwordx4 a[24:27], v54, s[12:15], 0 offen       // 000000005804: E05C1000 80831836
	v_mul_f32_e32 v60, v76, v76                                // 00000000580C: 0A78994C
	v_mul_f32_e32 v61, v77, v77                                // 000000005810: 0A7A9B4D
	v_mul_f32_e32 v62, v78, v78                                // 000000005814: 0A7C9D4E
	v_mul_f32_e32 v63, v79, v79                                // 000000005818: 0A7E9F4F
	s_mov_b32 s3, 0xbd92220c                                   // 00000000581C: BE8300FF BD92220C
	v_fma_f32 v60, v60, s3, v1                                 // 000000005824: D1CB003C 0404073C
	v_fma_f32 v61, v61, s3, v1                                 // 00000000582C: D1CB003D 0404073D
	v_fma_f32 v62, v62, s3, v1                                 // 000000005834: D1CB003E 0404073E
	v_fma_f32 v63, v63, s3, v1                                 // 00000000583C: D1CB003F 0404073F
	v_mul_f32_e32 v60, v60, v76                                // 000000005844: 0A78993C
	v_mul_f32_e32 v61, v61, v77                                // 000000005848: 0A7A9B3D
	v_mul_f32_e32 v62, v62, v78                                // 00000000584C: 0A7C9D3E
	v_mul_f32_e32 v63, v63, v79                                // 000000005850: 0A7E9F3F
	v_mul_f32_e64 v60, v60, s6                                 // 000000005854: D105003C 00000D3C
	v_mul_f32_e64 v61, v61, s6                                 // 00000000585C: D105003D 00000D3D
	v_mul_f32_e64 v62, v62, s6                                 // 000000005864: D105003E 00000D3E
	v_mul_f32_e64 v63, v63, s6                                 // 00000000586C: D105003F 00000D3F
	v_exp_f32_e32 v60, v60                                     // 000000005874: 7E78413C
	v_exp_f32_e32 v61, v61                                     // 000000005878: 7E7A413D
	v_exp_f32_e32 v62, v62                                     // 00000000587C: 7E7C413E
	v_exp_f32_e32 v63, v63                                     // 000000005880: 7E7E413F
	buffer_load_dwordx4 a[28:31], v54, s[12:15], 0 offen offset:1024// 000000005884: E05C1400 80831C36
	s_add_u32 s12, s74, s12                                    // 00000000588C: 800C0C4A
	s_addc_u32 s13, 0, s13                                     // 000000005890: 820D0D80
	v_add_f32_e64 v60, v60, 1.0                                // 000000005894: D101003C 0001E53C
	v_add_f32_e64 v61, v61, 1.0                                // 00000000589C: D101003D 0001E53D
	v_add_f32_e64 v62, v62, 1.0                                // 0000000058A4: D101003E 0001E53E
	v_add_f32_e64 v63, v63, 1.0                                // 0000000058AC: D101003F 0001E53F
	v_rcp_f32_e32 v60, v60                                     // 0000000058B4: 7E78453C
	v_rcp_f32_e32 v61, v61                                     // 0000000058B8: 7E7A453D
	v_rcp_f32_e32 v62, v62                                     // 0000000058BC: 7E7C453E
	v_rcp_f32_e32 v63, v63                                     // 0000000058C0: 7E7E453F
	v_mul_f32_e32 v76, v76, v60                                // 0000000058C4: 0A98794C
	v_mul_f32_e32 v77, v77, v61                                // 0000000058C8: 0A9A7B4D
	v_mul_f32_e32 v78, v78, v62                                // 0000000058CC: 0A9C7D4E
	v_mul_f32_e32 v79, v79, v63                                // 0000000058D0: 0A9E7F4F
	v_mul_f32_e32 v76, v76, v140                               // 0000000058D4: 0A99194C
	v_mul_f32_e32 v77, v77, v141                               // 0000000058D8: 0A9B1B4D
	v_mul_f32_e32 v78, v78, v142                               // 0000000058DC: 0A9D1D4E
	v_mul_f32_e32 v79, v79, v143                               // 0000000058E0: 0A9F1F4F
	s_waitcnt vmcnt(12)                                        // 0000000058E4: BF8C0F7C
	buffer_load_dwordx4 a[32:35], v51, s[12:15], 0 offen       // 0000000058E8: E05C1000 80832033
	v_mul_f32_e32 v60, v80, v80                                // 0000000058F0: 0A78A150
	v_mul_f32_e32 v61, v81, v81                                // 0000000058F4: 0A7AA351
	v_mul_f32_e32 v62, v82, v82                                // 0000000058F8: 0A7CA552
	v_mul_f32_e32 v63, v83, v83                                // 0000000058FC: 0A7EA753
	s_mov_b32 s3, 0xbd92220c                                   // 000000005900: BE8300FF BD92220C
	v_fma_f32 v60, v60, s3, v1                                 // 000000005908: D1CB003C 0404073C
	v_fma_f32 v61, v61, s3, v1                                 // 000000005910: D1CB003D 0404073D
	v_fma_f32 v62, v62, s3, v1                                 // 000000005918: D1CB003E 0404073E
	v_fma_f32 v63, v63, s3, v1                                 // 000000005920: D1CB003F 0404073F
	v_mul_f32_e32 v60, v60, v80                                // 000000005928: 0A78A13C
	v_mul_f32_e32 v61, v61, v81                                // 00000000592C: 0A7AA33D
	v_mul_f32_e32 v62, v62, v82                                // 000000005930: 0A7CA53E
	v_mul_f32_e32 v63, v63, v83                                // 000000005934: 0A7EA73F
	v_mul_f32_e64 v60, v60, s6                                 // 000000005938: D105003C 00000D3C
	v_mul_f32_e64 v61, v61, s6                                 // 000000005940: D105003D 00000D3D
	v_mul_f32_e64 v62, v62, s6                                 // 000000005948: D105003E 00000D3E
	v_mul_f32_e64 v63, v63, s6                                 // 000000005950: D105003F 00000D3F
	v_exp_f32_e32 v60, v60                                     // 000000005958: 7E78413C
	v_exp_f32_e32 v61, v61                                     // 00000000595C: 7E7A413D
	v_exp_f32_e32 v62, v62                                     // 000000005960: 7E7C413E
	v_exp_f32_e32 v63, v63                                     // 000000005964: 7E7E413F
	buffer_load_dwordx4 a[36:39], v51, s[12:15], 0 offen offset:1024// 000000005968: E05C1400 80832433
	v_add_f32_e64 v60, v60, 1.0                                // 000000005970: D101003C 0001E53C
	v_add_f32_e64 v61, v61, 1.0                                // 000000005978: D101003D 0001E53D
	v_add_f32_e64 v62, v62, 1.0                                // 000000005980: D101003E 0001E53E
	v_add_f32_e64 v63, v63, 1.0                                // 000000005988: D101003F 0001E53F
	v_rcp_f32_e32 v60, v60                                     // 000000005990: 7E78453C
	v_rcp_f32_e32 v61, v61                                     // 000000005994: 7E7A453D
	v_rcp_f32_e32 v62, v62                                     // 000000005998: 7E7C453E
	v_rcp_f32_e32 v63, v63                                     // 00000000599C: 7E7E453F
	v_mul_f32_e32 v80, v80, v60                                // 0000000059A0: 0AA07950
	v_mul_f32_e32 v81, v81, v61                                // 0000000059A4: 0AA27B51
	v_mul_f32_e32 v82, v82, v62                                // 0000000059A8: 0AA47D52
	v_mul_f32_e32 v83, v83, v63                                // 0000000059AC: 0AA67F53
	v_mul_f32_e32 v80, v80, v144                               // 0000000059B0: 0AA12150
	v_mul_f32_e32 v81, v81, v145                               // 0000000059B4: 0AA32351
	v_mul_f32_e32 v82, v82, v146                               // 0000000059B8: 0AA52552
	v_mul_f32_e32 v83, v83, v147                               // 0000000059BC: 0AA72753
	buffer_load_dwordx4 a[40:43], v52, s[12:15], 0 offen       // 0000000059C0: E05C1000 80832834
	v_mul_f32_e32 v60, v84, v84                                // 0000000059C8: 0A78A954
	v_mul_f32_e32 v61, v85, v85                                // 0000000059CC: 0A7AAB55
	v_mul_f32_e32 v62, v86, v86                                // 0000000059D0: 0A7CAD56
	v_mul_f32_e32 v63, v87, v87                                // 0000000059D4: 0A7EAF57
	s_mov_b32 s3, 0xbd92220c                                   // 0000000059D8: BE8300FF BD92220C
	v_fma_f32 v60, v60, s3, v1                                 // 0000000059E0: D1CB003C 0404073C
	v_fma_f32 v61, v61, s3, v1                                 // 0000000059E8: D1CB003D 0404073D
	v_fma_f32 v62, v62, s3, v1                                 // 0000000059F0: D1CB003E 0404073E
	v_fma_f32 v63, v63, s3, v1                                 // 0000000059F8: D1CB003F 0404073F
	v_mul_f32_e32 v60, v60, v84                                // 000000005A00: 0A78A93C
	v_mul_f32_e32 v61, v61, v85                                // 000000005A04: 0A7AAB3D
	v_mul_f32_e32 v62, v62, v86                                // 000000005A08: 0A7CAD3E
	v_mul_f32_e32 v63, v63, v87                                // 000000005A0C: 0A7EAF3F
	v_mul_f32_e64 v60, v60, s6                                 // 000000005A10: D105003C 00000D3C
	v_mul_f32_e64 v61, v61, s6                                 // 000000005A18: D105003D 00000D3D
	v_mul_f32_e64 v62, v62, s6                                 // 000000005A20: D105003E 00000D3E
	v_mul_f32_e64 v63, v63, s6                                 // 000000005A28: D105003F 00000D3F
	v_exp_f32_e32 v60, v60                                     // 000000005A30: 7E78413C
	v_exp_f32_e32 v61, v61                                     // 000000005A34: 7E7A413D
	v_exp_f32_e32 v62, v62                                     // 000000005A38: 7E7C413E
	v_exp_f32_e32 v63, v63                                     // 000000005A3C: 7E7E413F
	buffer_load_dwordx4 a[44:47], v52, s[12:15], 0 offen offset:1024// 000000005A40: E05C1400 80832C34
	v_add_f32_e64 v60, v60, 1.0                                // 000000005A48: D101003C 0001E53C
	v_add_f32_e64 v61, v61, 1.0                                // 000000005A50: D101003D 0001E53D
	v_add_f32_e64 v62, v62, 1.0                                // 000000005A58: D101003E 0001E53E
	v_add_f32_e64 v63, v63, 1.0                                // 000000005A60: D101003F 0001E53F
	v_rcp_f32_e32 v60, v60                                     // 000000005A68: 7E78453C
	v_rcp_f32_e32 v61, v61                                     // 000000005A6C: 7E7A453D
	v_rcp_f32_e32 v62, v62                                     // 000000005A70: 7E7C453E
	v_rcp_f32_e32 v63, v63                                     // 000000005A74: 7E7E453F
	v_mul_f32_e32 v84, v84, v60                                // 000000005A78: 0AA87954
	v_mul_f32_e32 v85, v85, v61                                // 000000005A7C: 0AAA7B55
	v_mul_f32_e32 v86, v86, v62                                // 000000005A80: 0AAC7D56
	v_mul_f32_e32 v87, v87, v63                                // 000000005A84: 0AAE7F57
	v_mul_f32_e32 v84, v84, v148                               // 000000005A88: 0AA92954
	v_mul_f32_e32 v85, v85, v149                               // 000000005A8C: 0AAB2B55
	v_mul_f32_e32 v86, v86, v150                               // 000000005A90: 0AAD2D56
	v_mul_f32_e32 v87, v87, v151                               // 000000005A94: 0AAF2F57
	s_waitcnt vmcnt(12)                                        // 000000005A98: BF8C0F7C
	buffer_load_dwordx4 a[48:51], v53, s[12:15], 0 offen       // 000000005A9C: E05C1000 80833035
	v_mul_f32_e32 v60, v88, v88                                // 000000005AA4: 0A78B158
	v_mul_f32_e32 v61, v89, v89                                // 000000005AA8: 0A7AB359
	v_mul_f32_e32 v62, v90, v90                                // 000000005AAC: 0A7CB55A
	v_mul_f32_e32 v63, v91, v91                                // 000000005AB0: 0A7EB75B
	s_mov_b32 s3, 0xbd92220c                                   // 000000005AB4: BE8300FF BD92220C
	v_fma_f32 v60, v60, s3, v1                                 // 000000005ABC: D1CB003C 0404073C
	v_fma_f32 v61, v61, s3, v1                                 // 000000005AC4: D1CB003D 0404073D
	v_fma_f32 v62, v62, s3, v1                                 // 000000005ACC: D1CB003E 0404073E
	v_fma_f32 v63, v63, s3, v1                                 // 000000005AD4: D1CB003F 0404073F
	v_mul_f32_e32 v60, v60, v88                                // 000000005ADC: 0A78B13C
	v_mul_f32_e32 v61, v61, v89                                // 000000005AE0: 0A7AB33D
	v_mul_f32_e32 v62, v62, v90                                // 000000005AE4: 0A7CB53E
	v_mul_f32_e32 v63, v63, v91                                // 000000005AE8: 0A7EB73F
	v_mul_f32_e64 v60, v60, s6                                 // 000000005AEC: D105003C 00000D3C
	v_mul_f32_e64 v61, v61, s6                                 // 000000005AF4: D105003D 00000D3D
	v_mul_f32_e64 v62, v62, s6                                 // 000000005AFC: D105003E 00000D3E
	v_mul_f32_e64 v63, v63, s6                                 // 000000005B04: D105003F 00000D3F
	v_exp_f32_e32 v60, v60                                     // 000000005B0C: 7E78413C
	v_exp_f32_e32 v61, v61                                     // 000000005B10: 7E7A413D
	v_exp_f32_e32 v62, v62                                     // 000000005B14: 7E7C413E
	v_exp_f32_e32 v63, v63                                     // 000000005B18: 7E7E413F
	buffer_load_dwordx4 a[52:55], v53, s[12:15], 0 offen offset:1024// 000000005B1C: E05C1400 80833435
	v_add_f32_e64 v60, v60, 1.0                                // 000000005B24: D101003C 0001E53C
	v_add_f32_e64 v61, v61, 1.0                                // 000000005B2C: D101003D 0001E53D
	v_add_f32_e64 v62, v62, 1.0                                // 000000005B34: D101003E 0001E53E
	v_add_f32_e64 v63, v63, 1.0                                // 000000005B3C: D101003F 0001E53F
	v_rcp_f32_e32 v60, v60                                     // 000000005B44: 7E78453C
	v_rcp_f32_e32 v61, v61                                     // 000000005B48: 7E7A453D
	v_rcp_f32_e32 v62, v62                                     // 000000005B4C: 7E7C453E
	v_rcp_f32_e32 v63, v63                                     // 000000005B50: 7E7E453F
	v_mul_f32_e32 v88, v88, v60                                // 000000005B54: 0AB07958
	v_mul_f32_e32 v89, v89, v61                                // 000000005B58: 0AB27B59
	v_mul_f32_e32 v90, v90, v62                                // 000000005B5C: 0AB47D5A
	v_mul_f32_e32 v91, v91, v63                                // 000000005B60: 0AB67F5B
	v_mul_f32_e32 v88, v88, v152                               // 000000005B64: 0AB13158
	v_mul_f32_e32 v89, v89, v153                               // 000000005B68: 0AB33359
	v_mul_f32_e32 v90, v90, v154                               // 000000005B6C: 0AB5355A
	v_mul_f32_e32 v91, v91, v155                               // 000000005B70: 0AB7375B
	buffer_load_dwordx4 a[56:59], v54, s[12:15], 0 offen       // 000000005B74: E05C1000 80833836
	v_mul_f32_e32 v60, v92, v92                                // 000000005B7C: 0A78B95C
	v_mul_f32_e32 v61, v93, v93                                // 000000005B80: 0A7ABB5D
	v_mul_f32_e32 v62, v94, v94                                // 000000005B84: 0A7CBD5E
	v_mul_f32_e32 v63, v95, v95                                // 000000005B88: 0A7EBF5F
	s_mov_b32 s3, 0xbd92220c                                   // 000000005B8C: BE8300FF BD92220C
	v_fma_f32 v60, v60, s3, v1                                 // 000000005B94: D1CB003C 0404073C
	v_fma_f32 v61, v61, s3, v1                                 // 000000005B9C: D1CB003D 0404073D
	v_fma_f32 v62, v62, s3, v1                                 // 000000005BA4: D1CB003E 0404073E
	v_fma_f32 v63, v63, s3, v1                                 // 000000005BAC: D1CB003F 0404073F
	v_mul_f32_e32 v60, v60, v92                                // 000000005BB4: 0A78B93C
	v_mul_f32_e32 v61, v61, v93                                // 000000005BB8: 0A7ABB3D
	v_mul_f32_e32 v62, v62, v94                                // 000000005BBC: 0A7CBD3E
	v_mul_f32_e32 v63, v63, v95                                // 000000005BC0: 0A7EBF3F
	v_mul_f32_e64 v60, v60, s6                                 // 000000005BC4: D105003C 00000D3C
	v_mul_f32_e64 v61, v61, s6                                 // 000000005BCC: D105003D 00000D3D
	v_mul_f32_e64 v62, v62, s6                                 // 000000005BD4: D105003E 00000D3E
	v_mul_f32_e64 v63, v63, s6                                 // 000000005BDC: D105003F 00000D3F
	v_exp_f32_e32 v60, v60                                     // 000000005BE4: 7E78413C
	v_exp_f32_e32 v61, v61                                     // 000000005BE8: 7E7A413D
	v_exp_f32_e32 v62, v62                                     // 000000005BEC: 7E7C413E
	v_exp_f32_e32 v63, v63                                     // 000000005BF0: 7E7E413F
	buffer_load_dwordx4 a[60:63], v54, s[12:15], 0 offen offset:1024// 000000005BF4: E05C1400 80833C36
	v_add_f32_e64 v60, v60, 1.0                                // 000000005BFC: D101003C 0001E53C
	v_add_f32_e64 v61, v61, 1.0                                // 000000005C04: D101003D 0001E53D
	v_add_f32_e64 v62, v62, 1.0                                // 000000005C0C: D101003E 0001E53E
	v_add_f32_e64 v63, v63, 1.0                                // 000000005C14: D101003F 0001E53F
	v_rcp_f32_e32 v60, v60                                     // 000000005C1C: 7E78453C
	v_rcp_f32_e32 v61, v61                                     // 000000005C20: 7E7A453D
	v_rcp_f32_e32 v62, v62                                     // 000000005C24: 7E7C453E
	v_rcp_f32_e32 v63, v63                                     // 000000005C28: 7E7E453F
	v_mul_f32_e32 v92, v92, v60                                // 000000005C2C: 0AB8795C
	v_mul_f32_e32 v93, v93, v61                                // 000000005C30: 0ABA7B5D
	v_mul_f32_e32 v94, v94, v62                                // 000000005C34: 0ABC7D5E
	v_mul_f32_e32 v95, v95, v63                                // 000000005C38: 0ABE7F5F
	v_mul_f32_e32 v92, v92, v156                               // 000000005C3C: 0AB9395C
	v_mul_f32_e32 v93, v93, v157                               // 000000005C40: 0ABB3B5D
	v_mul_f32_e32 v94, v94, v158                               // 000000005C44: 0ABD3D5E
	v_mul_f32_e32 v95, v95, v159                               // 000000005C48: 0ABF3F5F
	s_waitcnt vmcnt(12)                                        // 000000005C4C: BF8C0F7C
	v_mul_f32_e32 v60, v96, v96                                // 000000005C50: 0A78C160
	v_mul_f32_e32 v61, v97, v97                                // 000000005C54: 0A7AC361
	v_mul_f32_e32 v62, v98, v98                                // 000000005C58: 0A7CC562
	v_mul_f32_e32 v63, v99, v99                                // 000000005C5C: 0A7EC763
	s_mov_b32 s3, 0xbd92220c                                   // 000000005C60: BE8300FF BD92220C
	v_fma_f32 v60, v60, s3, v1                                 // 000000005C68: D1CB003C 0404073C
	v_fma_f32 v61, v61, s3, v1                                 // 000000005C70: D1CB003D 0404073D
	v_fma_f32 v62, v62, s3, v1                                 // 000000005C78: D1CB003E 0404073E
	v_fma_f32 v63, v63, s3, v1                                 // 000000005C80: D1CB003F 0404073F
	v_mul_f32_e32 v60, v60, v96                                // 000000005C88: 0A78C13C
	v_mul_f32_e32 v61, v61, v97                                // 000000005C8C: 0A7AC33D
	v_mul_f32_e32 v62, v62, v98                                // 000000005C90: 0A7CC53E
	v_mul_f32_e32 v63, v63, v99                                // 000000005C94: 0A7EC73F
	v_mul_f32_e64 v60, v60, s6                                 // 000000005C98: D105003C 00000D3C
	v_mul_f32_e64 v61, v61, s6                                 // 000000005CA0: D105003D 00000D3D
	v_mul_f32_e64 v62, v62, s6                                 // 000000005CA8: D105003E 00000D3E
	v_mul_f32_e64 v63, v63, s6                                 // 000000005CB0: D105003F 00000D3F
	v_exp_f32_e32 v60, v60                                     // 000000005CB8: 7E78413C
	v_exp_f32_e32 v61, v61                                     // 000000005CBC: 7E7A413D
	v_exp_f32_e32 v62, v62                                     // 000000005CC0: 7E7C413E
	v_exp_f32_e32 v63, v63                                     // 000000005CC4: 7E7E413F
	v_add_f32_e64 v60, v60, 1.0                                // 000000005CC8: D101003C 0001E53C
	v_add_f32_e64 v61, v61, 1.0                                // 000000005CD0: D101003D 0001E53D
	v_add_f32_e64 v62, v62, 1.0                                // 000000005CD8: D101003E 0001E53E
	v_add_f32_e64 v63, v63, 1.0                                // 000000005CE0: D101003F 0001E53F
	v_rcp_f32_e32 v60, v60                                     // 000000005CE8: 7E78453C
	v_rcp_f32_e32 v61, v61                                     // 000000005CEC: 7E7A453D
	v_rcp_f32_e32 v62, v62                                     // 000000005CF0: 7E7C453E
	v_rcp_f32_e32 v63, v63                                     // 000000005CF4: 7E7E453F
	v_mul_f32_e32 v96, v96, v60                                // 000000005CF8: 0AC07960
	v_mul_f32_e32 v97, v97, v61                                // 000000005CFC: 0AC27B61
	v_mul_f32_e32 v98, v98, v62                                // 000000005D00: 0AC47D62
	v_mul_f32_e32 v99, v99, v63                                // 000000005D04: 0AC67F63
	v_mul_f32_e32 v96, v96, v160                               // 000000005D08: 0AC14160
	v_mul_f32_e32 v97, v97, v161                               // 000000005D0C: 0AC34361
	v_mul_f32_e32 v98, v98, v162                               // 000000005D10: 0AC54562
	v_mul_f32_e32 v99, v99, v163                               // 000000005D14: 0AC74763
	v_mul_f32_e32 v60, v100, v100                              // 000000005D18: 0A78C964
	v_mul_f32_e32 v61, v101, v101                              // 000000005D1C: 0A7ACB65
	v_mul_f32_e32 v62, v102, v102                              // 000000005D20: 0A7CCD66
	v_mul_f32_e32 v63, v103, v103                              // 000000005D24: 0A7ECF67
	s_mov_b32 s3, 0xbd92220c                                   // 000000005D28: BE8300FF BD92220C
	v_fma_f32 v60, v60, s3, v1                                 // 000000005D30: D1CB003C 0404073C
	v_fma_f32 v61, v61, s3, v1                                 // 000000005D38: D1CB003D 0404073D
	v_fma_f32 v62, v62, s3, v1                                 // 000000005D40: D1CB003E 0404073E
	v_fma_f32 v63, v63, s3, v1                                 // 000000005D48: D1CB003F 0404073F
	v_mul_f32_e32 v60, v60, v100                               // 000000005D50: 0A78C93C
	v_mul_f32_e32 v61, v61, v101                               // 000000005D54: 0A7ACB3D
	v_mul_f32_e32 v62, v62, v102                               // 000000005D58: 0A7CCD3E
	v_mul_f32_e32 v63, v63, v103                               // 000000005D5C: 0A7ECF3F
	v_mul_f32_e64 v60, v60, s6                                 // 000000005D60: D105003C 00000D3C
	v_mul_f32_e64 v61, v61, s6                                 // 000000005D68: D105003D 00000D3D
	v_mul_f32_e64 v62, v62, s6                                 // 000000005D70: D105003E 00000D3E
	v_mul_f32_e64 v63, v63, s6                                 // 000000005D78: D105003F 00000D3F
	v_exp_f32_e32 v60, v60                                     // 000000005D80: 7E78413C
	v_exp_f32_e32 v61, v61                                     // 000000005D84: 7E7A413D
	v_exp_f32_e32 v62, v62                                     // 000000005D88: 7E7C413E
	v_exp_f32_e32 v63, v63                                     // 000000005D8C: 7E7E413F
	v_add_f32_e64 v60, v60, 1.0                                // 000000005D90: D101003C 0001E53C
	v_add_f32_e64 v61, v61, 1.0                                // 000000005D98: D101003D 0001E53D
	v_add_f32_e64 v62, v62, 1.0                                // 000000005DA0: D101003E 0001E53E
	v_add_f32_e64 v63, v63, 1.0                                // 000000005DA8: D101003F 0001E53F
	v_rcp_f32_e32 v60, v60                                     // 000000005DB0: 7E78453C
	v_rcp_f32_e32 v61, v61                                     // 000000005DB4: 7E7A453D
	v_rcp_f32_e32 v62, v62                                     // 000000005DB8: 7E7C453E
	v_rcp_f32_e32 v63, v63                                     // 000000005DBC: 7E7E453F
	v_mul_f32_e32 v100, v100, v60                              // 000000005DC0: 0AC87964
	v_mul_f32_e32 v101, v101, v61                              // 000000005DC4: 0ACA7B65
	v_mul_f32_e32 v102, v102, v62                              // 000000005DC8: 0ACC7D66
	v_mul_f32_e32 v103, v103, v63                              // 000000005DCC: 0ACE7F67
	v_mul_f32_e32 v100, v100, v164                             // 000000005DD0: 0AC94964
	v_mul_f32_e32 v101, v101, v165                             // 000000005DD4: 0ACB4B65
	v_mul_f32_e32 v102, v102, v166                             // 000000005DD8: 0ACD4D66
	v_mul_f32_e32 v103, v103, v167                             // 000000005DDC: 0ACF4F67
	s_waitcnt vmcnt(12)                                        // 000000005DE0: BF8C0F7C
	v_mul_f32_e32 v60, v104, v104                              // 000000005DE4: 0A78D168
	v_mul_f32_e32 v61, v105, v105                              // 000000005DE8: 0A7AD369
	v_mul_f32_e32 v62, v106, v106                              // 000000005DEC: 0A7CD56A
	v_mul_f32_e32 v63, v107, v107                              // 000000005DF0: 0A7ED76B
	s_mov_b32 s3, 0xbd92220c                                   // 000000005DF4: BE8300FF BD92220C
	v_fma_f32 v60, v60, s3, v1                                 // 000000005DFC: D1CB003C 0404073C
	v_fma_f32 v61, v61, s3, v1                                 // 000000005E04: D1CB003D 0404073D
	v_fma_f32 v62, v62, s3, v1                                 // 000000005E0C: D1CB003E 0404073E
	v_fma_f32 v63, v63, s3, v1                                 // 000000005E14: D1CB003F 0404073F
	v_mul_f32_e32 v60, v60, v104                               // 000000005E1C: 0A78D13C
	v_mul_f32_e32 v61, v61, v105                               // 000000005E20: 0A7AD33D
	v_mul_f32_e32 v62, v62, v106                               // 000000005E24: 0A7CD53E
	v_mul_f32_e32 v63, v63, v107                               // 000000005E28: 0A7ED73F
	v_mul_f32_e64 v60, v60, s6                                 // 000000005E2C: D105003C 00000D3C
	v_mul_f32_e64 v61, v61, s6                                 // 000000005E34: D105003D 00000D3D
	v_mul_f32_e64 v62, v62, s6                                 // 000000005E3C: D105003E 00000D3E
	v_mul_f32_e64 v63, v63, s6                                 // 000000005E44: D105003F 00000D3F
	v_exp_f32_e32 v60, v60                                     // 000000005E4C: 7E78413C
	v_exp_f32_e32 v61, v61                                     // 000000005E50: 7E7A413D
	v_exp_f32_e32 v62, v62                                     // 000000005E54: 7E7C413E
	v_exp_f32_e32 v63, v63                                     // 000000005E58: 7E7E413F
	v_add_f32_e64 v60, v60, 1.0                                // 000000005E5C: D101003C 0001E53C
	v_add_f32_e64 v61, v61, 1.0                                // 000000005E64: D101003D 0001E53D
	v_add_f32_e64 v62, v62, 1.0                                // 000000005E6C: D101003E 0001E53E
	v_add_f32_e64 v63, v63, 1.0                                // 000000005E74: D101003F 0001E53F
	v_rcp_f32_e32 v60, v60                                     // 000000005E7C: 7E78453C
	v_rcp_f32_e32 v61, v61                                     // 000000005E80: 7E7A453D
	v_rcp_f32_e32 v62, v62                                     // 000000005E84: 7E7C453E
	v_rcp_f32_e32 v63, v63                                     // 000000005E88: 7E7E453F
	v_mul_f32_e32 v104, v104, v60                              // 000000005E8C: 0AD07968
	v_mul_f32_e32 v105, v105, v61                              // 000000005E90: 0AD27B69
	v_mul_f32_e32 v106, v106, v62                              // 000000005E94: 0AD47D6A
	v_mul_f32_e32 v107, v107, v63                              // 000000005E98: 0AD67F6B
	v_mul_f32_e32 v104, v104, v168                             // 000000005E9C: 0AD15168
	v_mul_f32_e32 v105, v105, v169                             // 000000005EA0: 0AD35369
	v_mul_f32_e32 v106, v106, v170                             // 000000005EA4: 0AD5556A
	v_mul_f32_e32 v107, v107, v171                             // 000000005EA8: 0AD7576B
	v_mul_f32_e32 v60, v108, v108                              // 000000005EAC: 0A78D96C
	v_mul_f32_e32 v61, v109, v109                              // 000000005EB0: 0A7ADB6D
	v_mul_f32_e32 v62, v110, v110                              // 000000005EB4: 0A7CDD6E
	v_mul_f32_e32 v63, v111, v111                              // 000000005EB8: 0A7EDF6F
	s_mov_b32 s3, 0xbd92220c                                   // 000000005EBC: BE8300FF BD92220C
	v_fma_f32 v60, v60, s3, v1                                 // 000000005EC4: D1CB003C 0404073C
	v_fma_f32 v61, v61, s3, v1                                 // 000000005ECC: D1CB003D 0404073D
	v_fma_f32 v62, v62, s3, v1                                 // 000000005ED4: D1CB003E 0404073E
	v_fma_f32 v63, v63, s3, v1                                 // 000000005EDC: D1CB003F 0404073F
	v_mul_f32_e32 v60, v60, v108                               // 000000005EE4: 0A78D93C
	v_mul_f32_e32 v61, v61, v109                               // 000000005EE8: 0A7ADB3D
	v_mul_f32_e32 v62, v62, v110                               // 000000005EEC: 0A7CDD3E
	v_mul_f32_e32 v63, v63, v111                               // 000000005EF0: 0A7EDF3F
	v_mul_f32_e64 v60, v60, s6                                 // 000000005EF4: D105003C 00000D3C
	v_mul_f32_e64 v61, v61, s6                                 // 000000005EFC: D105003D 00000D3D
	v_mul_f32_e64 v62, v62, s6                                 // 000000005F04: D105003E 00000D3E
	v_mul_f32_e64 v63, v63, s6                                 // 000000005F0C: D105003F 00000D3F
	v_exp_f32_e32 v60, v60                                     // 000000005F14: 7E78413C
	v_exp_f32_e32 v61, v61                                     // 000000005F18: 7E7A413D
	v_exp_f32_e32 v62, v62                                     // 000000005F1C: 7E7C413E
	v_exp_f32_e32 v63, v63                                     // 000000005F20: 7E7E413F
	v_add_f32_e64 v60, v60, 1.0                                // 000000005F24: D101003C 0001E53C
	v_add_f32_e64 v61, v61, 1.0                                // 000000005F2C: D101003D 0001E53D
	v_add_f32_e64 v62, v62, 1.0                                // 000000005F34: D101003E 0001E53E
	v_add_f32_e64 v63, v63, 1.0                                // 000000005F3C: D101003F 0001E53F
	v_rcp_f32_e32 v60, v60                                     // 000000005F44: 7E78453C
	v_rcp_f32_e32 v61, v61                                     // 000000005F48: 7E7A453D
	v_rcp_f32_e32 v62, v62                                     // 000000005F4C: 7E7C453E
	v_rcp_f32_e32 v63, v63                                     // 000000005F50: 7E7E453F
	v_mul_f32_e32 v108, v108, v60                              // 000000005F54: 0AD8796C
	v_mul_f32_e32 v109, v109, v61                              // 000000005F58: 0ADA7B6D
	v_mul_f32_e32 v110, v110, v62                              // 000000005F5C: 0ADC7D6E
	v_mul_f32_e32 v111, v111, v63                              // 000000005F60: 0ADE7F6F
	v_mul_f32_e32 v108, v108, v172                             // 000000005F64: 0AD9596C
	v_mul_f32_e32 v109, v109, v173                             // 000000005F68: 0ADB5B6D
	v_mul_f32_e32 v110, v110, v174                             // 000000005F6C: 0ADD5D6E
	v_mul_f32_e32 v111, v111, v175                             // 000000005F70: 0ADF5F6F
	s_waitcnt vmcnt(12)                                        // 000000005F74: BF8C0F7C
	v_mul_f32_e32 v60, v112, v112                              // 000000005F78: 0A78E170
	v_mul_f32_e32 v61, v113, v113                              // 000000005F7C: 0A7AE371
	v_mul_f32_e32 v62, v114, v114                              // 000000005F80: 0A7CE572
	v_mul_f32_e32 v63, v115, v115                              // 000000005F84: 0A7EE773
	s_mov_b32 s3, 0xbd92220c                                   // 000000005F88: BE8300FF BD92220C
	v_fma_f32 v60, v60, s3, v1                                 // 000000005F90: D1CB003C 0404073C
	v_fma_f32 v61, v61, s3, v1                                 // 000000005F98: D1CB003D 0404073D
	v_fma_f32 v62, v62, s3, v1                                 // 000000005FA0: D1CB003E 0404073E
	v_fma_f32 v63, v63, s3, v1                                 // 000000005FA8: D1CB003F 0404073F
	v_mul_f32_e32 v60, v60, v112                               // 000000005FB0: 0A78E13C
	v_mul_f32_e32 v61, v61, v113                               // 000000005FB4: 0A7AE33D
	v_mul_f32_e32 v62, v62, v114                               // 000000005FB8: 0A7CE53E
	v_mul_f32_e32 v63, v63, v115                               // 000000005FBC: 0A7EE73F
	v_mul_f32_e64 v60, v60, s6                                 // 000000005FC0: D105003C 00000D3C
	v_mul_f32_e64 v61, v61, s6                                 // 000000005FC8: D105003D 00000D3D
	v_mul_f32_e64 v62, v62, s6                                 // 000000005FD0: D105003E 00000D3E
	v_mul_f32_e64 v63, v63, s6                                 // 000000005FD8: D105003F 00000D3F
	v_exp_f32_e32 v60, v60                                     // 000000005FE0: 7E78413C
	v_exp_f32_e32 v61, v61                                     // 000000005FE4: 7E7A413D
	v_exp_f32_e32 v62, v62                                     // 000000005FE8: 7E7C413E
	v_exp_f32_e32 v63, v63                                     // 000000005FEC: 7E7E413F
	v_add_f32_e64 v60, v60, 1.0                                // 000000005FF0: D101003C 0001E53C
	v_add_f32_e64 v61, v61, 1.0                                // 000000005FF8: D101003D 0001E53D
	v_add_f32_e64 v62, v62, 1.0                                // 000000006000: D101003E 0001E53E
	v_add_f32_e64 v63, v63, 1.0                                // 000000006008: D101003F 0001E53F
	v_rcp_f32_e32 v60, v60                                     // 000000006010: 7E78453C
	v_rcp_f32_e32 v61, v61                                     // 000000006014: 7E7A453D
	v_rcp_f32_e32 v62, v62                                     // 000000006018: 7E7C453E
	v_rcp_f32_e32 v63, v63                                     // 00000000601C: 7E7E453F
	v_mul_f32_e32 v112, v112, v60                              // 000000006020: 0AE07970
	v_mul_f32_e32 v113, v113, v61                              // 000000006024: 0AE27B71
	v_mul_f32_e32 v114, v114, v62                              // 000000006028: 0AE47D72
	v_mul_f32_e32 v115, v115, v63                              // 00000000602C: 0AE67F73
	v_mul_f32_e32 v112, v112, v176                             // 000000006030: 0AE16170
	v_mul_f32_e32 v113, v113, v177                             // 000000006034: 0AE36371
	v_mul_f32_e32 v114, v114, v178                             // 000000006038: 0AE56572
	v_mul_f32_e32 v115, v115, v179                             // 00000000603C: 0AE76773
	v_mul_f32_e32 v60, v116, v116                              // 000000006040: 0A78E974
	v_mul_f32_e32 v61, v117, v117                              // 000000006044: 0A7AEB75
	v_mul_f32_e32 v62, v118, v118                              // 000000006048: 0A7CED76
	v_mul_f32_e32 v63, v119, v119                              // 00000000604C: 0A7EEF77
	s_mov_b32 s3, 0xbd92220c                                   // 000000006050: BE8300FF BD92220C
	v_fma_f32 v60, v60, s3, v1                                 // 000000006058: D1CB003C 0404073C
	v_fma_f32 v61, v61, s3, v1                                 // 000000006060: D1CB003D 0404073D
	v_fma_f32 v62, v62, s3, v1                                 // 000000006068: D1CB003E 0404073E
	v_fma_f32 v63, v63, s3, v1                                 // 000000006070: D1CB003F 0404073F
	v_mul_f32_e32 v60, v60, v116                               // 000000006078: 0A78E93C
	v_mul_f32_e32 v61, v61, v117                               // 00000000607C: 0A7AEB3D
	v_mul_f32_e32 v62, v62, v118                               // 000000006080: 0A7CED3E
	v_mul_f32_e32 v63, v63, v119                               // 000000006084: 0A7EEF3F
	v_mul_f32_e64 v60, v60, s6                                 // 000000006088: D105003C 00000D3C
	v_mul_f32_e64 v61, v61, s6                                 // 000000006090: D105003D 00000D3D
	v_mul_f32_e64 v62, v62, s6                                 // 000000006098: D105003E 00000D3E
	v_mul_f32_e64 v63, v63, s6                                 // 0000000060A0: D105003F 00000D3F
	v_exp_f32_e32 v60, v60                                     // 0000000060A8: 7E78413C
	v_exp_f32_e32 v61, v61                                     // 0000000060AC: 7E7A413D
	v_exp_f32_e32 v62, v62                                     // 0000000060B0: 7E7C413E
	v_exp_f32_e32 v63, v63                                     // 0000000060B4: 7E7E413F
	v_add_f32_e64 v60, v60, 1.0                                // 0000000060B8: D101003C 0001E53C
	v_add_f32_e64 v61, v61, 1.0                                // 0000000060C0: D101003D 0001E53D
	v_add_f32_e64 v62, v62, 1.0                                // 0000000060C8: D101003E 0001E53E
	v_add_f32_e64 v63, v63, 1.0                                // 0000000060D0: D101003F 0001E53F
	v_rcp_f32_e32 v60, v60                                     // 0000000060D8: 7E78453C
	v_rcp_f32_e32 v61, v61                                     // 0000000060DC: 7E7A453D
	v_rcp_f32_e32 v62, v62                                     // 0000000060E0: 7E7C453E
	v_rcp_f32_e32 v63, v63                                     // 0000000060E4: 7E7E453F
	v_mul_f32_e32 v116, v116, v60                              // 0000000060E8: 0AE87974
	v_mul_f32_e32 v117, v117, v61                              // 0000000060EC: 0AEA7B75
	v_mul_f32_e32 v118, v118, v62                              // 0000000060F0: 0AEC7D76
	v_mul_f32_e32 v119, v119, v63                              // 0000000060F4: 0AEE7F77
	v_mul_f32_e32 v116, v116, v180                             // 0000000060F8: 0AE96974
	v_mul_f32_e32 v117, v117, v181                             // 0000000060FC: 0AEB6B75
	v_mul_f32_e32 v118, v118, v182                             // 000000006100: 0AED6D76
	v_mul_f32_e32 v119, v119, v183                             // 000000006104: 0AEF6F77
	s_waitcnt vmcnt(12)                                        // 000000006108: BF8C0F7C
	v_mul_f32_e32 v60, v120, v120                              // 00000000610C: 0A78F178
	v_mul_f32_e32 v61, v121, v121                              // 000000006110: 0A7AF379
	v_mul_f32_e32 v62, v122, v122                              // 000000006114: 0A7CF57A
	v_mul_f32_e32 v63, v123, v123                              // 000000006118: 0A7EF77B
	s_mov_b32 s3, 0xbd92220c                                   // 00000000611C: BE8300FF BD92220C
	v_fma_f32 v60, v60, s3, v1                                 // 000000006124: D1CB003C 0404073C
	v_fma_f32 v61, v61, s3, v1                                 // 00000000612C: D1CB003D 0404073D
	v_fma_f32 v62, v62, s3, v1                                 // 000000006134: D1CB003E 0404073E
	v_fma_f32 v63, v63, s3, v1                                 // 00000000613C: D1CB003F 0404073F
	v_mul_f32_e32 v60, v60, v120                               // 000000006144: 0A78F13C
	v_mul_f32_e32 v61, v61, v121                               // 000000006148: 0A7AF33D
	v_mul_f32_e32 v62, v62, v122                               // 00000000614C: 0A7CF53E
	v_mul_f32_e32 v63, v63, v123                               // 000000006150: 0A7EF73F
	v_mul_f32_e64 v60, v60, s6                                 // 000000006154: D105003C 00000D3C
	v_mul_f32_e64 v61, v61, s6                                 // 00000000615C: D105003D 00000D3D
	v_mul_f32_e64 v62, v62, s6                                 // 000000006164: D105003E 00000D3E
	v_mul_f32_e64 v63, v63, s6                                 // 00000000616C: D105003F 00000D3F
	v_exp_f32_e32 v60, v60                                     // 000000006174: 7E78413C
	v_exp_f32_e32 v61, v61                                     // 000000006178: 7E7A413D
	v_exp_f32_e32 v62, v62                                     // 00000000617C: 7E7C413E
	v_exp_f32_e32 v63, v63                                     // 000000006180: 7E7E413F
	v_add_f32_e64 v60, v60, 1.0                                // 000000006184: D101003C 0001E53C
	v_add_f32_e64 v61, v61, 1.0                                // 00000000618C: D101003D 0001E53D
	v_add_f32_e64 v62, v62, 1.0                                // 000000006194: D101003E 0001E53E
	v_add_f32_e64 v63, v63, 1.0                                // 00000000619C: D101003F 0001E53F
	v_rcp_f32_e32 v60, v60                                     // 0000000061A4: 7E78453C
	v_rcp_f32_e32 v61, v61                                     // 0000000061A8: 7E7A453D
	v_rcp_f32_e32 v62, v62                                     // 0000000061AC: 7E7C453E
	v_rcp_f32_e32 v63, v63                                     // 0000000061B0: 7E7E453F
	v_mul_f32_e32 v120, v120, v60                              // 0000000061B4: 0AF07978
	v_mul_f32_e32 v121, v121, v61                              // 0000000061B8: 0AF27B79
	v_mul_f32_e32 v122, v122, v62                              // 0000000061BC: 0AF47D7A
	v_mul_f32_e32 v123, v123, v63                              // 0000000061C0: 0AF67F7B
	v_mul_f32_e32 v120, v120, v184                             // 0000000061C4: 0AF17178
	v_mul_f32_e32 v121, v121, v185                             // 0000000061C8: 0AF37379
	v_mul_f32_e32 v122, v122, v186                             // 0000000061CC: 0AF5757A
	v_mul_f32_e32 v123, v123, v187                             // 0000000061D0: 0AF7777B
	v_mul_f32_e32 v60, v124, v124                              // 0000000061D4: 0A78F97C
	v_mul_f32_e32 v61, v125, v125                              // 0000000061D8: 0A7AFB7D
	v_mul_f32_e32 v62, v126, v126                              // 0000000061DC: 0A7CFD7E
	v_mul_f32_e32 v63, v127, v127                              // 0000000061E0: 0A7EFF7F
	s_mov_b32 s3, 0xbd92220c                                   // 0000000061E4: BE8300FF BD92220C
	v_fma_f32 v60, v60, s3, v1                                 // 0000000061EC: D1CB003C 0404073C
	v_fma_f32 v61, v61, s3, v1                                 // 0000000061F4: D1CB003D 0404073D
	v_fma_f32 v62, v62, s3, v1                                 // 0000000061FC: D1CB003E 0404073E
	v_fma_f32 v63, v63, s3, v1                                 // 000000006204: D1CB003F 0404073F
	v_mul_f32_e32 v60, v60, v124                               // 00000000620C: 0A78F93C
	v_mul_f32_e32 v61, v61, v125                               // 000000006210: 0A7AFB3D
	v_mul_f32_e32 v62, v62, v126                               // 000000006214: 0A7CFD3E
	v_mul_f32_e32 v63, v63, v127                               // 000000006218: 0A7EFF3F
	v_mul_f32_e64 v60, v60, s6                                 // 00000000621C: D105003C 00000D3C
	v_mul_f32_e64 v61, v61, s6                                 // 000000006224: D105003D 00000D3D
	v_mul_f32_e64 v62, v62, s6                                 // 00000000622C: D105003E 00000D3E
	v_mul_f32_e64 v63, v63, s6                                 // 000000006234: D105003F 00000D3F
	v_exp_f32_e32 v60, v60                                     // 00000000623C: 7E78413C
	v_exp_f32_e32 v61, v61                                     // 000000006240: 7E7A413D
	v_exp_f32_e32 v62, v62                                     // 000000006244: 7E7C413E
	v_exp_f32_e32 v63, v63                                     // 000000006248: 7E7E413F
	v_add_f32_e64 v60, v60, 1.0                                // 00000000624C: D101003C 0001E53C
	v_add_f32_e64 v61, v61, 1.0                                // 000000006254: D101003D 0001E53D
	v_add_f32_e64 v62, v62, 1.0                                // 00000000625C: D101003E 0001E53E
	v_add_f32_e64 v63, v63, 1.0                                // 000000006264: D101003F 0001E53F
	v_rcp_f32_e32 v60, v60                                     // 00000000626C: 7E78453C
	v_rcp_f32_e32 v61, v61                                     // 000000006270: 7E7A453D
	v_rcp_f32_e32 v62, v62                                     // 000000006274: 7E7C453E
	v_rcp_f32_e32 v63, v63                                     // 000000006278: 7E7E453F
	v_mul_f32_e32 v124, v124, v60                              // 00000000627C: 0AF8797C
	v_mul_f32_e32 v125, v125, v61                              // 000000006280: 0AFA7B7D
	v_mul_f32_e32 v126, v126, v62                              // 000000006284: 0AFC7D7E
	v_mul_f32_e32 v127, v127, v63                              // 000000006288: 0AFE7F7F
	v_mul_f32_e32 v124, v124, v188                             // 00000000628C: 0AF9797C
	v_mul_f32_e32 v125, v125, v189                             // 000000006290: 0AFB7B7D
	v_mul_f32_e32 v126, v126, v190                             // 000000006294: 0AFD7D7E
	v_mul_f32_e32 v127, v127, v191                             // 000000006298: 0AFF7F7F
	buffer_load_dword v37, v8, s[16:19], 0 offen               // 00000000629C: E0501000 80042508
	v_mov_b32_e32 v192, 0x358637bd                             // 0000000062A4: 7F8002FF 358637BD
	v_mov_b32_e32 v193, 0x358637bd                             // 0000000062AC: 7F8202FF 358637BD
	v_mov_b32_e32 v194, 0x358637bd                             // 0000000062B4: 7F8402FF 358637BD
	v_mov_b32_e32 v195, 0x358637bd                             // 0000000062BC: 7F8602FF 358637BD
	v_max3_f32 v192, |v64|, |v65|, v192                        // 0000000062C4: D1D303C0 07028340
	v_max3_f32 v192, |v66|, |v67|, v192                        // 0000000062CC: D1D303C0 07028742
	v_max3_f32 v193, |v68|, |v69|, v193                        // 0000000062D4: D1D303C1 07068B44
	v_max3_f32 v193, |v70|, |v71|, v193                        // 0000000062DC: D1D303C1 07068F46
	v_max3_f32 v194, |v72|, |v73|, v194                        // 0000000062E4: D1D303C2 070A9348
	v_max3_f32 v194, |v74|, |v75|, v194                        // 0000000062EC: D1D303C2 070A974A
	v_max3_f32 v195, |v76|, |v77|, v195                        // 0000000062F4: D1D303C3 070E9B4C
	v_max3_f32 v195, |v78|, |v79|, v195                        // 0000000062FC: D1D303C3 070E9F4E
	v_max3_f32 v192, |v80|, |v81|, v192                        // 000000006304: D1D303C0 0702A350
	v_max3_f32 v192, |v82|, |v83|, v192                        // 00000000630C: D1D303C0 0702A752
	v_max3_f32 v193, |v84|, |v85|, v193                        // 000000006314: D1D303C1 0706AB54
	v_max3_f32 v193, |v86|, |v87|, v193                        // 00000000631C: D1D303C1 0706AF56
	v_max3_f32 v194, |v88|, |v89|, v194                        // 000000006324: D1D303C2 070AB358
	v_max3_f32 v194, |v90|, |v91|, v194                        // 00000000632C: D1D303C2 070AB75A
	v_max3_f32 v195, |v92|, |v93|, v195                        // 000000006334: D1D303C3 070EBB5C
	v_max3_f32 v195, |v94|, |v95|, v195                        // 00000000633C: D1D303C3 070EBF5E
	v_mov_b32_e32 v60, v192                                    // 000000006344: 7E7803C0
	s_nop 1                                                    // 000000006348: BF800001
	v_permlane32_swap_b32_e32 v60, v192                        // 00000000634C: 7E78B5C0
	v_max_f32_e32 v192, v60, v192                              // 000000006350: 1781813C
	v_mov_b32_e32 v60, v192                                    // 000000006354: 7E7803C0
	s_nop 1                                                    // 000000006358: BF800001
	v_permlane16_swap_b32_e32 v60, v192                        // 00000000635C: 7E78B3C0
	v_max_f32_e32 v192, v60, v192                              // 000000006360: 1781813C
	v_mov_b32_e32 v60, v193                                    // 000000006364: 7E7803C1
	s_nop 1                                                    // 000000006368: BF800001
	v_permlane32_swap_b32_e32 v60, v193                        // 00000000636C: 7E78B5C1
	v_max_f32_e32 v193, v60, v193                              // 000000006370: 1783833C
	v_mov_b32_e32 v60, v193                                    // 000000006374: 7E7803C1
	s_nop 1                                                    // 000000006378: BF800001
	v_permlane16_swap_b32_e32 v60, v193                        // 00000000637C: 7E78B3C1
	v_max_f32_e32 v193, v60, v193                              // 000000006380: 1783833C
	v_mov_b32_e32 v60, v194                                    // 000000006384: 7E7803C2
	s_nop 1                                                    // 000000006388: BF800001
	v_permlane32_swap_b32_e32 v60, v194                        // 00000000638C: 7E78B5C2
	v_max_f32_e32 v194, v60, v194                              // 000000006390: 1785853C
	v_mov_b32_e32 v60, v194                                    // 000000006394: 7E7803C2
	s_nop 1                                                    // 000000006398: BF800001
	v_permlane16_swap_b32_e32 v60, v194                        // 00000000639C: 7E78B3C2
	v_max_f32_e32 v194, v60, v194                              // 0000000063A0: 1785853C
	v_mov_b32_e32 v60, v195                                    // 0000000063A4: 7E7803C3
	s_nop 1                                                    // 0000000063A8: BF800001
	v_permlane32_swap_b32_e32 v60, v195                        // 0000000063AC: 7E78B5C3
	v_max_f32_e32 v195, v60, v195                              // 0000000063B0: 1787873C
	v_mov_b32_e32 v60, v195                                    // 0000000063B4: 7E7803C3
	s_nop 1                                                    // 0000000063B8: BF800001
	v_permlane16_swap_b32_e32 v60, v195                        // 0000000063BC: 7E78B3C3
	v_max_f32_e32 v195, v60, v195                              // 0000000063C0: 1787873C
	v_lshlrev_b32_e32 v60, 2, v0                               // 0000000063C4: 24780082
	s_mul_i32 s56, 64, s7                                      // 0000000063C8: 923807C0
	v_add_u32_e32 v60, s56, v60                                // 0000000063CC: 68787838
	s_mov_b32 s56, 0xffff                                      // 0000000063D0: BEB800FF 0000FFFF
	s_mov_b32 s57, 0                                           // 0000000063D8: BEB90080
	s_mov_b64 exec, s[56:57]                                   // 0000000063DC: BEFE0138
	ds_write_b32 v60, v192 offset:37888                        // 0000000063E0: D81A9400 0000C03C
	ds_write_b32 v60, v193 offset:38144                        // 0000000063E8: D81A9500 0000C13C
	ds_write_b32 v60, v194 offset:38400                        // 0000000063F0: D81A9600 0000C23C
	ds_write_b32 v60, v195 offset:38656                        // 0000000063F8: D81A9700 0000C33C
	s_mov_b32 s56, -1                                          // 000000006400: BEB800C1
	s_mov_b32 s57, -1                                          // 000000006404: BEB900C1
	s_mov_b64 exec, s[56:57]                                   // 000000006408: BEFE0138
	s_waitcnt lgkmcnt(0)                                       // 00000000640C: BF8CC07F
	s_barrier                                                  // 000000006410: BF8A0000
	v_lshlrev_b32_e32 v60, 2, v0                               // 000000006414: 24780082
	ds_read_b32 v252, v60 offset:37888                         // 000000006418: D86C9400 FC00003C
	ds_read_b32 v253, v60 offset:38144                         // 000000006420: D86C9500 FD00003C
	ds_read_b32 v254, v60 offset:38400                         // 000000006428: D86C9600 FE00003C
	ds_read_b32 v255, v60 offset:38656                         // 000000006430: D86C9700 FF00003C
	s_waitcnt lgkmcnt(0)                                       // 000000006438: BF8CC07F
	v_mov_b32_e32 v60, v252                                    // 00000000643C: 7E7803FC
	s_nop 1                                                    // 000000006440: BF800001
	v_permlane32_swap_b32_e32 v60, v252                        // 000000006444: 7E78B5FC
	v_max_f32_e32 v252, v60, v252                              // 000000006448: 17F9F93C
	v_mov_b32_e32 v60, v252                                    // 00000000644C: 7E7803FC
	s_nop 1                                                    // 000000006450: BF800001
	v_permlane16_swap_b32_e32 v60, v252                        // 000000006454: 7E78B3FC
	v_max_f32_e32 v252, v60, v252                              // 000000006458: 17F9F93C
	v_mov_b32_e32 v60, v253                                    // 00000000645C: 7E7803FD
	s_nop 1                                                    // 000000006460: BF800001
	v_permlane32_swap_b32_e32 v60, v253                        // 000000006464: 7E78B5FD
	v_max_f32_e32 v253, v60, v253                              // 000000006468: 17FBFB3C
	v_mov_b32_e32 v60, v253                                    // 00000000646C: 7E7803FD
	s_nop 1                                                    // 000000006470: BF800001
	v_permlane16_swap_b32_e32 v60, v253                        // 000000006474: 7E78B3FD
	v_max_f32_e32 v253, v60, v253                              // 000000006478: 17FBFB3C
	v_mov_b32_e32 v60, v254                                    // 00000000647C: 7E7803FE
	s_nop 1                                                    // 000000006480: BF800001
	v_permlane32_swap_b32_e32 v60, v254                        // 000000006484: 7E78B5FE
	v_max_f32_e32 v254, v60, v254                              // 000000006488: 17FDFD3C
	v_mov_b32_e32 v60, v254                                    // 00000000648C: 7E7803FE
	s_nop 1                                                    // 000000006490: BF800001
	v_permlane16_swap_b32_e32 v60, v254                        // 000000006494: 7E78B3FE
	v_max_f32_e32 v254, v60, v254                              // 000000006498: 17FDFD3C
	v_mov_b32_e32 v60, v255                                    // 00000000649C: 7E7803FF
	s_nop 1                                                    // 0000000064A0: BF800001
	v_permlane32_swap_b32_e32 v60, v255                        // 0000000064A4: 7E78B5FF
	v_max_f32_e32 v255, v60, v255                              // 0000000064A8: 17FFFF3C
	v_mov_b32_e32 v60, v255                                    // 0000000064AC: 7E7803FF
	s_nop 1                                                    // 0000000064B0: BF800001
	v_permlane16_swap_b32_e32 v60, v255                        // 0000000064B4: 7E78B3FF
	v_max_f32_e32 v255, v60, v255                              // 0000000064B8: 17FFFF3C
	v_max_f32_e32 v192, v252, v192                             // 0000000064BC: 178181FC
	v_max_f32_e32 v193, v253, v193                             // 0000000064C0: 178383FD
	v_max_f32_e32 v194, v254, v194                             // 0000000064C4: 178585FE
	v_max_f32_e32 v195, v255, v195                             // 0000000064C8: 178787FF
	v_rcp_f32_e32 v192, v192                                   // 0000000064CC: 7F8045C0
	v_rcp_f32_e32 v193, v193                                   // 0000000064D0: 7F8245C1
	v_rcp_f32_e32 v194, v194                                   // 0000000064D4: 7F8445C2
	v_rcp_f32_e32 v195, v195                                   // 0000000064D8: 7F8645C3
	v_mov_b32_e32 v60, 0x43e00000                              // 0000000064DC: 7E7802FF 43E00000
	v_mul_f32_e32 v192, v60, v192                              // 0000000064E4: 0B81813C
	v_mul_f32_e32 v193, v60, v193                              // 0000000064E8: 0B83833C
	v_mul_f32_e32 v194, v60, v194                              // 0000000064EC: 0B85853C
	v_mul_f32_e32 v195, v60, v195                              // 0000000064F0: 0B87873C
	v_mul_f32_e32 v64, v192, v64                               // 0000000064F4: 0A8081C0
	v_mul_f32_e32 v65, v192, v65                               // 0000000064F8: 0A8283C0
	v_mul_f32_e32 v66, v192, v66                               // 0000000064FC: 0A8485C0
	v_mul_f32_e32 v67, v192, v67                               // 000000006500: 0A8687C0
	v_cvt_pk_fp8_f32 v64, v64, v65                             // 000000006504: D2A20040 00028340
	v_cvt_pk_fp8_f32 v64, v66, v67 op_sel:[0,0,1]              // 00000000650C: D2A24040 00028742
	v_mul_f32_e32 v68, v193, v68                               // 000000006514: 0A8889C1
	v_mul_f32_e32 v69, v193, v69                               // 000000006518: 0A8A8BC1
	v_mul_f32_e32 v70, v193, v70                               // 00000000651C: 0A8C8DC1
	v_mul_f32_e32 v71, v193, v71                               // 000000006520: 0A8E8FC1
	v_cvt_pk_fp8_f32 v65, v68, v69                             // 000000006524: D2A20041 00028B44
	v_cvt_pk_fp8_f32 v65, v70, v71 op_sel:[0,0,1]              // 00000000652C: D2A24041 00028F46
	v_mul_f32_e32 v72, v194, v72                               // 000000006534: 0A9091C2
	v_mul_f32_e32 v73, v194, v73                               // 000000006538: 0A9293C2
	v_mul_f32_e32 v74, v194, v74                               // 00000000653C: 0A9495C2
	v_mul_f32_e32 v75, v194, v75                               // 000000006540: 0A9697C2
	v_cvt_pk_fp8_f32 v66, v72, v73                             // 000000006544: D2A20042 00029348
	v_cvt_pk_fp8_f32 v66, v74, v75 op_sel:[0,0,1]              // 00000000654C: D2A24042 0002974A
	v_mul_f32_e32 v76, v195, v76                               // 000000006554: 0A9899C3
	v_mul_f32_e32 v77, v195, v77                               // 000000006558: 0A9A9BC3
	v_mul_f32_e32 v78, v195, v78                               // 00000000655C: 0A9C9DC3
	v_mul_f32_e32 v79, v195, v79                               // 000000006560: 0A9E9FC3
	v_cvt_pk_fp8_f32 v67, v76, v77                             // 000000006564: D2A20043 00029B4C
	v_cvt_pk_fp8_f32 v67, v78, v79 op_sel:[0,0,1]              // 00000000656C: D2A24043 00029F4E
	v_mul_f32_e32 v80, v192, v80                               // 000000006574: 0AA0A1C0
	v_mul_f32_e32 v81, v192, v81                               // 000000006578: 0AA2A3C0
	v_mul_f32_e32 v82, v192, v82                               // 00000000657C: 0AA4A5C0
	v_mul_f32_e32 v83, v192, v83                               // 000000006580: 0AA6A7C0
	v_cvt_pk_fp8_f32 v68, v80, v81                             // 000000006584: D2A20044 0002A350
	v_cvt_pk_fp8_f32 v68, v82, v83 op_sel:[0,0,1]              // 00000000658C: D2A24044 0002A752
	v_mul_f32_e32 v84, v193, v84                               // 000000006594: 0AA8A9C1
	v_mul_f32_e32 v85, v193, v85                               // 000000006598: 0AAAABC1
	v_mul_f32_e32 v86, v193, v86                               // 00000000659C: 0AACADC1
	v_mul_f32_e32 v87, v193, v87                               // 0000000065A0: 0AAEAFC1
	v_cvt_pk_fp8_f32 v69, v84, v85                             // 0000000065A4: D2A20045 0002AB54
	v_cvt_pk_fp8_f32 v69, v86, v87 op_sel:[0,0,1]              // 0000000065AC: D2A24045 0002AF56
	v_mul_f32_e32 v88, v194, v88                               // 0000000065B4: 0AB0B1C2
	v_mul_f32_e32 v89, v194, v89                               // 0000000065B8: 0AB2B3C2
	v_mul_f32_e32 v90, v194, v90                               // 0000000065BC: 0AB4B5C2
	v_mul_f32_e32 v91, v194, v91                               // 0000000065C0: 0AB6B7C2
	v_cvt_pk_fp8_f32 v70, v88, v89                             // 0000000065C4: D2A20046 0002B358
	v_cvt_pk_fp8_f32 v70, v90, v91 op_sel:[0,0,1]              // 0000000065CC: D2A24046 0002B75A
	v_mul_f32_e32 v92, v195, v92                               // 0000000065D4: 0AB8B9C3
	v_mul_f32_e32 v93, v195, v93                               // 0000000065D8: 0ABABBC3
	v_mul_f32_e32 v94, v195, v94                               // 0000000065DC: 0ABCBDC3
	v_mul_f32_e32 v95, v195, v95                               // 0000000065E0: 0ABEBFC3
	v_cvt_pk_fp8_f32 v71, v92, v93                             // 0000000065E4: D2A20047 0002BB5C
	v_cvt_pk_fp8_f32 v71, v94, v95 op_sel:[0,0,1]              // 0000000065EC: D2A24047 0002BF5E
	v_rcp_f32_e32 v21, v192                                    // 0000000065F4: 7E2A45C0
	v_rcp_f32_e32 v22, v193                                    // 0000000065F8: 7E2C45C1
	v_rcp_f32_e32 v23, v194                                    // 0000000065FC: 7E2E45C2
	v_rcp_f32_e32 v24, v195                                    // 000000006600: 7E3045C3
	v_mov_b32_e32 v196, 0x358637bd                             // 000000006604: 7F8802FF 358637BD
	v_mov_b32_e32 v197, 0x358637bd                             // 00000000660C: 7F8A02FF 358637BD
	v_mov_b32_e32 v198, 0x358637bd                             // 000000006614: 7F8C02FF 358637BD
	v_mov_b32_e32 v199, 0x358637bd                             // 00000000661C: 7F8E02FF 358637BD
	v_max3_f32 v196, |v96|, |v97|, v196                        // 000000006624: D1D303C4 0712C360
	v_max3_f32 v196, |v98|, |v99|, v196                        // 00000000662C: D1D303C4 0712C762
	v_max3_f32 v197, |v100|, |v101|, v197                      // 000000006634: D1D303C5 0716CB64
	v_max3_f32 v197, |v102|, |v103|, v197                      // 00000000663C: D1D303C5 0716CF66
	v_max3_f32 v198, |v104|, |v105|, v198                      // 000000006644: D1D303C6 071AD368
	v_max3_f32 v198, |v106|, |v107|, v198                      // 00000000664C: D1D303C6 071AD76A
	v_max3_f32 v199, |v108|, |v109|, v199                      // 000000006654: D1D303C7 071EDB6C
	v_max3_f32 v199, |v110|, |v111|, v199                      // 00000000665C: D1D303C7 071EDF6E
	v_max3_f32 v196, |v112|, |v113|, v196                      // 000000006664: D1D303C4 0712E370
	v_max3_f32 v196, |v114|, |v115|, v196                      // 00000000666C: D1D303C4 0712E772
	v_max3_f32 v197, |v116|, |v117|, v197                      // 000000006674: D1D303C5 0716EB74
	v_max3_f32 v197, |v118|, |v119|, v197                      // 00000000667C: D1D303C5 0716EF76
	v_max3_f32 v198, |v120|, |v121|, v198                      // 000000006684: D1D303C6 071AF378
	v_max3_f32 v198, |v122|, |v123|, v198                      // 00000000668C: D1D303C6 071AF77A
	v_max3_f32 v199, |v124|, |v125|, v199                      // 000000006694: D1D303C7 071EFB7C
	v_max3_f32 v199, |v126|, |v127|, v199                      // 00000000669C: D1D303C7 071EFF7E
	v_mov_b32_e32 v60, v196                                    // 0000000066A4: 7E7803C4
	s_nop 1                                                    // 0000000066A8: BF800001
	v_permlane32_swap_b32_e32 v60, v196                        // 0000000066AC: 7E78B5C4
	v_max_f32_e32 v196, v60, v196                              // 0000000066B0: 1789893C
	v_mov_b32_e32 v60, v196                                    // 0000000066B4: 7E7803C4
	s_nop 1                                                    // 0000000066B8: BF800001
	v_permlane16_swap_b32_e32 v60, v196                        // 0000000066BC: 7E78B3C4
	v_max_f32_e32 v196, v60, v196                              // 0000000066C0: 1789893C
	v_mov_b32_e32 v60, v197                                    // 0000000066C4: 7E7803C5
	s_nop 1                                                    // 0000000066C8: BF800001
	v_permlane32_swap_b32_e32 v60, v197                        // 0000000066CC: 7E78B5C5
	v_max_f32_e32 v197, v60, v197                              // 0000000066D0: 178B8B3C
	v_mov_b32_e32 v60, v197                                    // 0000000066D4: 7E7803C5
	s_nop 1                                                    // 0000000066D8: BF800001
	v_permlane16_swap_b32_e32 v60, v197                        // 0000000066DC: 7E78B3C5
	v_max_f32_e32 v197, v60, v197                              // 0000000066E0: 178B8B3C
	v_mov_b32_e32 v60, v198                                    // 0000000066E4: 7E7803C6
	s_nop 1                                                    // 0000000066E8: BF800001
	v_permlane32_swap_b32_e32 v60, v198                        // 0000000066EC: 7E78B5C6
	v_max_f32_e32 v198, v60, v198                              // 0000000066F0: 178D8D3C
	v_mov_b32_e32 v60, v198                                    // 0000000066F4: 7E7803C6
	s_nop 1                                                    // 0000000066F8: BF800001
	v_permlane16_swap_b32_e32 v60, v198                        // 0000000066FC: 7E78B3C6
	v_max_f32_e32 v198, v60, v198                              // 000000006700: 178D8D3C
	v_mov_b32_e32 v60, v199                                    // 000000006704: 7E7803C7
	s_nop 1                                                    // 000000006708: BF800001
	v_permlane32_swap_b32_e32 v60, v199                        // 00000000670C: 7E78B5C7
	v_max_f32_e32 v199, v60, v199                              // 000000006710: 178F8F3C
	v_mov_b32_e32 v60, v199                                    // 000000006714: 7E7803C7
	s_nop 1                                                    // 000000006718: BF800001
	v_permlane16_swap_b32_e32 v60, v199                        // 00000000671C: 7E78B3C7
	v_max_f32_e32 v199, v60, v199                              // 000000006720: 178F8F3C
	v_lshlrev_b32_e32 v60, 2, v0                               // 000000006724: 24780082
	s_mul_i32 s56, 64, s7                                      // 000000006728: 923807C0
	v_add_u32_e32 v60, s56, v60                                // 00000000672C: 68787838
	s_mov_b32 s56, 0xffff                                      // 000000006730: BEB800FF 0000FFFF
	s_mov_b32 s57, 0                                           // 000000006738: BEB90080
	s_mov_b64 exec, s[56:57]                                   // 00000000673C: BEFE0138
	ds_write_b32 v60, v196 offset:37888                        // 000000006740: D81A9400 0000C43C
	ds_write_b32 v60, v197 offset:38144                        // 000000006748: D81A9500 0000C53C
	ds_write_b32 v60, v198 offset:38400                        // 000000006750: D81A9600 0000C63C
	ds_write_b32 v60, v199 offset:38656                        // 000000006758: D81A9700 0000C73C
	s_mov_b32 s56, -1                                          // 000000006760: BEB800C1
	s_mov_b32 s57, -1                                          // 000000006764: BEB900C1
	s_mov_b64 exec, s[56:57]                                   // 000000006768: BEFE0138
	s_waitcnt lgkmcnt(0)                                       // 00000000676C: BF8CC07F
	s_barrier                                                  // 000000006770: BF8A0000
	v_lshlrev_b32_e32 v60, 2, v0                               // 000000006774: 24780082
	ds_read_b32 v252, v60 offset:37888                         // 000000006778: D86C9400 FC00003C
	ds_read_b32 v253, v60 offset:38144                         // 000000006780: D86C9500 FD00003C
	ds_read_b32 v254, v60 offset:38400                         // 000000006788: D86C9600 FE00003C
	ds_read_b32 v255, v60 offset:38656                         // 000000006790: D86C9700 FF00003C
	s_waitcnt lgkmcnt(0)                                       // 000000006798: BF8CC07F
	v_mov_b32_e32 v60, v252                                    // 00000000679C: 7E7803FC
	s_nop 1                                                    // 0000000067A0: BF800001
	v_permlane32_swap_b32_e32 v60, v252                        // 0000000067A4: 7E78B5FC
	v_max_f32_e32 v252, v60, v252                              // 0000000067A8: 17F9F93C
	v_mov_b32_e32 v60, v252                                    // 0000000067AC: 7E7803FC
	s_nop 1                                                    // 0000000067B0: BF800001
	v_permlane16_swap_b32_e32 v60, v252                        // 0000000067B4: 7E78B3FC
	v_max_f32_e32 v252, v60, v252                              // 0000000067B8: 17F9F93C
	v_mov_b32_e32 v60, v253                                    // 0000000067BC: 7E7803FD
	s_nop 1                                                    // 0000000067C0: BF800001
	v_permlane32_swap_b32_e32 v60, v253                        // 0000000067C4: 7E78B5FD
	v_max_f32_e32 v253, v60, v253                              // 0000000067C8: 17FBFB3C
	v_mov_b32_e32 v60, v253                                    // 0000000067CC: 7E7803FD
	s_nop 1                                                    // 0000000067D0: BF800001
	v_permlane16_swap_b32_e32 v60, v253                        // 0000000067D4: 7E78B3FD
	v_max_f32_e32 v253, v60, v253                              // 0000000067D8: 17FBFB3C
	v_mov_b32_e32 v60, v254                                    // 0000000067DC: 7E7803FE
	s_nop 1                                                    // 0000000067E0: BF800001
	v_permlane32_swap_b32_e32 v60, v254                        // 0000000067E4: 7E78B5FE
	v_max_f32_e32 v254, v60, v254                              // 0000000067E8: 17FDFD3C
	v_mov_b32_e32 v60, v254                                    // 0000000067EC: 7E7803FE
	s_nop 1                                                    // 0000000067F0: BF800001
	v_permlane16_swap_b32_e32 v60, v254                        // 0000000067F4: 7E78B3FE
	v_max_f32_e32 v254, v60, v254                              // 0000000067F8: 17FDFD3C
	v_mov_b32_e32 v60, v255                                    // 0000000067FC: 7E7803FF
	s_nop 1                                                    // 000000006800: BF800001
	v_permlane32_swap_b32_e32 v60, v255                        // 000000006804: 7E78B5FF
	v_max_f32_e32 v255, v60, v255                              // 000000006808: 17FFFF3C
	v_mov_b32_e32 v60, v255                                    // 00000000680C: 7E7803FF
	s_nop 1                                                    // 000000006810: BF800001
	v_permlane16_swap_b32_e32 v60, v255                        // 000000006814: 7E78B3FF
	v_max_f32_e32 v255, v60, v255                              // 000000006818: 17FFFF3C
	v_max_f32_e32 v196, v252, v196                             // 00000000681C: 178989FC
	v_max_f32_e32 v197, v253, v197                             // 000000006820: 178B8BFD
	v_max_f32_e32 v198, v254, v198                             // 000000006824: 178D8DFE
	v_max_f32_e32 v199, v255, v199                             // 000000006828: 178F8FFF
	v_rcp_f32_e32 v196, v196                                   // 00000000682C: 7F8845C4
	v_rcp_f32_e32 v197, v197                                   // 000000006830: 7F8A45C5
	v_rcp_f32_e32 v198, v198                                   // 000000006834: 7F8C45C6
	v_rcp_f32_e32 v199, v199                                   // 000000006838: 7F8E45C7
	v_mov_b32_e32 v60, 0x43e00000                              // 00000000683C: 7E7802FF 43E00000
	v_mul_f32_e32 v196, v60, v196                              // 000000006844: 0B89893C
	v_mul_f32_e32 v197, v60, v197                              // 000000006848: 0B8B8B3C
	v_mul_f32_e32 v198, v60, v198                              // 00000000684C: 0B8D8D3C
	v_mul_f32_e32 v199, v60, v199                              // 000000006850: 0B8F8F3C
	v_mul_f32_e32 v96, v196, v96                               // 000000006854: 0AC0C1C4
	v_mul_f32_e32 v97, v196, v97                               // 000000006858: 0AC2C3C4
	v_mul_f32_e32 v98, v196, v98                               // 00000000685C: 0AC4C5C4
	v_mul_f32_e32 v99, v196, v99                               // 000000006860: 0AC6C7C4
	v_cvt_pk_fp8_f32 v72, v96, v97                             // 000000006864: D2A20048 0002C360
	v_cvt_pk_fp8_f32 v72, v98, v99 op_sel:[0,0,1]              // 00000000686C: D2A24048 0002C762
	v_mul_f32_e32 v100, v197, v100                             // 000000006874: 0AC8C9C5
	v_mul_f32_e32 v101, v197, v101                             // 000000006878: 0ACACBC5
	v_mul_f32_e32 v102, v197, v102                             // 00000000687C: 0ACCCDC5
	v_mul_f32_e32 v103, v197, v103                             // 000000006880: 0ACECFC5
	v_cvt_pk_fp8_f32 v73, v100, v101                           // 000000006884: D2A20049 0002CB64
	v_cvt_pk_fp8_f32 v73, v102, v103 op_sel:[0,0,1]            // 00000000688C: D2A24049 0002CF66
	v_mul_f32_e32 v104, v198, v104                             // 000000006894: 0AD0D1C6
	v_mul_f32_e32 v105, v198, v105                             // 000000006898: 0AD2D3C6
	v_mul_f32_e32 v106, v198, v106                             // 00000000689C: 0AD4D5C6
	v_mul_f32_e32 v107, v198, v107                             // 0000000068A0: 0AD6D7C6
	v_cvt_pk_fp8_f32 v74, v104, v105                           // 0000000068A4: D2A2004A 0002D368
	v_cvt_pk_fp8_f32 v74, v106, v107 op_sel:[0,0,1]            // 0000000068AC: D2A2404A 0002D76A
	v_mul_f32_e32 v108, v199, v108                             // 0000000068B4: 0AD8D9C7
	v_mul_f32_e32 v109, v199, v109                             // 0000000068B8: 0ADADBC7
	v_mul_f32_e32 v110, v199, v110                             // 0000000068BC: 0ADCDDC7
	v_mul_f32_e32 v111, v199, v111                             // 0000000068C0: 0ADEDFC7
	v_cvt_pk_fp8_f32 v75, v108, v109                           // 0000000068C4: D2A2004B 0002DB6C
	v_cvt_pk_fp8_f32 v75, v110, v111 op_sel:[0,0,1]            // 0000000068CC: D2A2404B 0002DF6E
	v_mul_f32_e32 v112, v196, v112                             // 0000000068D4: 0AE0E1C4
	v_mul_f32_e32 v113, v196, v113                             // 0000000068D8: 0AE2E3C4
	v_mul_f32_e32 v114, v196, v114                             // 0000000068DC: 0AE4E5C4
	v_mul_f32_e32 v115, v196, v115                             // 0000000068E0: 0AE6E7C4
	v_cvt_pk_fp8_f32 v76, v112, v113                           // 0000000068E4: D2A2004C 0002E370
	v_cvt_pk_fp8_f32 v76, v114, v115 op_sel:[0,0,1]            // 0000000068EC: D2A2404C 0002E772
	v_mul_f32_e32 v116, v197, v116                             // 0000000068F4: 0AE8E9C5
	v_mul_f32_e32 v117, v197, v117                             // 0000000068F8: 0AEAEBC5
	v_mul_f32_e32 v118, v197, v118                             // 0000000068FC: 0AECEDC5
	v_mul_f32_e32 v119, v197, v119                             // 000000006900: 0AEEEFC5
	v_cvt_pk_fp8_f32 v77, v116, v117                           // 000000006904: D2A2004D 0002EB74
	v_cvt_pk_fp8_f32 v77, v118, v119 op_sel:[0,0,1]            // 00000000690C: D2A2404D 0002EF76
	v_mul_f32_e32 v120, v198, v120                             // 000000006914: 0AF0F1C6
	v_mul_f32_e32 v121, v198, v121                             // 000000006918: 0AF2F3C6
	v_mul_f32_e32 v122, v198, v122                             // 00000000691C: 0AF4F5C6
	v_mul_f32_e32 v123, v198, v123                             // 000000006920: 0AF6F7C6
	v_cvt_pk_fp8_f32 v78, v120, v121                           // 000000006924: D2A2004E 0002F378
	v_cvt_pk_fp8_f32 v78, v122, v123 op_sel:[0,0,1]            // 00000000692C: D2A2404E 0002F77A
	v_mul_f32_e32 v124, v199, v124                             // 000000006934: 0AF8F9C7
	v_mul_f32_e32 v125, v199, v125                             // 000000006938: 0AFAFBC7
	v_mul_f32_e32 v126, v199, v126                             // 00000000693C: 0AFCFDC7
	v_mul_f32_e32 v127, v199, v127                             // 000000006940: 0AFEFFC7
	v_cvt_pk_fp8_f32 v79, v124, v125                           // 000000006944: D2A2004F 0002FB7C
	v_cvt_pk_fp8_f32 v79, v126, v127 op_sel:[0,0,1]            // 00000000694C: D2A2404F 0002FF7E
	v_rcp_f32_e32 v25, v196                                    // 000000006954: 7E3245C4
	v_rcp_f32_e32 v26, v197                                    // 000000006958: 7E3445C5
	v_rcp_f32_e32 v27, v198                                    // 00000000695C: 7E3645C6
	v_rcp_f32_e32 v28, v199                                    // 000000006960: 7E3845C7
	v_lshrrev_b32_e32 v60, 5, v0                               // 000000006964: 20780085
	v_lshlrev_b32_e32 v61, 6, v60                              // 000000006968: 247A7886
	v_and_b32_e32 v60, 31, v0                                  // 00000000696C: 2678009F
	v_lshrrev_b32_e32 v62, 4, v60                              // 000000006970: 207C7884
	v_add_u32_e32 v61, v62, v61                                // 000000006974: 687A7B3E
	v_and_b32_e32 v60, 15, v0                                  // 000000006978: 2678008F
	v_lshlrev_b32_e32 v60, 1, v60                              // 00000000697C: 24787881
	v_add_u32_e32 v61, v60, v61                                // 000000006980: 687A7B3C
	v_lshlrev_b32_e32 v60, 2, v61                              // 000000006984: 24787A82
	s_mov_b32 s56, 0                                           // 000000006988: BEB80080
	s_lshr_b32 s57, s7, 1                                      // 00000000698C: 8F398107
	s_mul_i32 s57, s57, 0x200                                  // 000000006990: 9239FF39 00000200
	s_add_u32 s56, s57, s56                                    // 000000006998: 80383839
	s_and_b32 s57, s7, 1                                       // 00000000699C: 86398107
	s_mul_i32 s57, s57, 0x80                                   // 0000000069A0: 9239FF39 00000080
	s_add_u32 s56, s57, s56                                    // 0000000069A8: 80383839
	v_add_u32_e64 v60, v60, s56                                // 0000000069AC: D134003C 0000713C
	ds_write_b32 v60, v64 offset:41984                         // 0000000069B4: D81AA400 0000403C
	ds_write_b32 v60, v65 offset:46080                         // 0000000069BC: D81AB400 0000413C
	ds_write_b32 v60, v66 offset:50176                         // 0000000069C4: D81AC400 0000423C
	ds_write_b32 v60, v67 offset:54272                         // 0000000069CC: D81AD400 0000433C
	ds_write_b32 v60, v68 offset:43008                         // 0000000069D4: D81AA800 0000443C
	ds_write_b32 v60, v69 offset:47104                         // 0000000069DC: D81AB800 0000453C
	ds_write_b32 v60, v70 offset:51200                         // 0000000069E4: D81AC800 0000463C
	ds_write_b32 v60, v71 offset:55296                         // 0000000069EC: D81AD800 0000473C
	ds_write_b32 v60, v72 offset:44032                         // 0000000069F4: D81AAC00 0000483C
	ds_write_b32 v60, v73 offset:48128                         // 0000000069FC: D81ABC00 0000493C
	ds_write_b32 v60, v74 offset:52224                         // 000000006A04: D81ACC00 00004A3C
	ds_write_b32 v60, v75 offset:56320                         // 000000006A0C: D81ADC00 00004B3C
	ds_write_b32 v60, v76 offset:45056                         // 000000006A14: D81AB000 00004C3C
	ds_write_b32 v60, v77 offset:49152                         // 000000006A1C: D81AC000 00004D3C
	ds_write_b32 v60, v78 offset:53248                         // 000000006A24: D81AD000 00004E3C
	ds_write_b32 v60, v79 offset:57344                         // 000000006A2C: D81AE000 00004F3C
	s_waitcnt lgkmcnt(0)                                       // 000000006A34: BF8CC07F
	s_barrier                                                  // 000000006A38: BF8A0000
	v_and_b32_e32 v60, 31, v0                                  // 000000006A3C: 2678009F
	v_lshrrev_b32_e32 v60, 4, v60                              // 000000006A40: 20787884
	v_lshlrev_b32_e32 v61, 5, v60                              // 000000006A44: 247A7885
	v_lshrrev_b32_e32 v60, 5, v0                               // 000000006A48: 20780085
	v_lshlrev_b32_e32 v60, 7, v60                              // 000000006A4C: 24787887
	v_add_u32_e32 v61, v60, v61                                // 000000006A50: 687A7B3C
	v_and_b32_e32 v60, 15, v0                                  // 000000006A54: 2678008F
	v_lshlrev_b32_e32 v60, 1, v60                              // 000000006A58: 24787881
	v_add_u32_e32 v61, v60, v61                                // 000000006A5C: 687A7B3C
	v_lshlrev_b32_e32 v60, 2, v61                              // 000000006A60: 24787A82
	ds_read_b64 a[128:129], v60 offset:41984                   // 000000006A64: DAECA400 8000003C
	ds_read_b64 a[130:131], v60 offset:42240                   // 000000006A6C: DAECA500 8200003C
	ds_read_b64 a[132:133], v60 offset:43008                   // 000000006A74: DAECA800 8400003C
	ds_read_b64 a[134:135], v60 offset:43264                   // 000000006A7C: DAECA900 8600003C
	ds_read_b64 a[136:137], v60 offset:44032                   // 000000006A84: DAECAC00 8800003C
	ds_read_b64 a[138:139], v60 offset:44288                   // 000000006A8C: DAECAD00 8A00003C
	ds_read_b64 a[140:141], v60 offset:45056                   // 000000006A94: DAECB000 8C00003C
	ds_read_b64 a[142:143], v60 offset:45312                   // 000000006A9C: DAECB100 8E00003C
	ds_read_b64 a[144:145], v60 offset:46080                   // 000000006AA4: DAECB400 9000003C
	ds_read_b64 a[146:147], v60 offset:46336                   // 000000006AAC: DAECB500 9200003C
	ds_read_b64 a[148:149], v60 offset:47104                   // 000000006AB4: DAECB800 9400003C
	ds_read_b64 a[150:151], v60 offset:47360                   // 000000006ABC: DAECB900 9600003C
	ds_read_b64 a[152:153], v60 offset:48128                   // 000000006AC4: DAECBC00 9800003C
	ds_read_b64 a[154:155], v60 offset:48384                   // 000000006ACC: DAECBD00 9A00003C
	ds_read_b64 a[156:157], v60 offset:49152                   // 000000006AD4: DAECC000 9C00003C
	ds_read_b64 a[158:159], v60 offset:49408                   // 000000006ADC: DAECC100 9E00003C
	ds_read_b64 a[160:161], v60 offset:50176                   // 000000006AE4: DAECC400 A000003C
	ds_read_b64 a[162:163], v60 offset:50432                   // 000000006AEC: DAECC500 A200003C
	ds_read_b64 a[164:165], v60 offset:51200                   // 000000006AF4: DAECC800 A400003C
	ds_read_b64 a[166:167], v60 offset:51456                   // 000000006AFC: DAECC900 A600003C
	ds_read_b64 a[168:169], v60 offset:52224                   // 000000006B04: DAECCC00 A800003C
	ds_read_b64 a[170:171], v60 offset:52480                   // 000000006B0C: DAECCD00 AA00003C
	ds_read_b64 a[172:173], v60 offset:53248                   // 000000006B14: DAECD000 AC00003C
	ds_read_b64 a[174:175], v60 offset:53504                   // 000000006B1C: DAECD100 AE00003C
	ds_read_b64 a[176:177], v60 offset:54272                   // 000000006B24: DAECD400 B000003C
	ds_read_b64 a[178:179], v60 offset:54528                   // 000000006B2C: DAECD500 B200003C
	ds_read_b64 a[180:181], v60 offset:55296                   // 000000006B34: DAECD800 B400003C
	ds_read_b64 a[182:183], v60 offset:55552                   // 000000006B3C: DAECD900 B600003C
	ds_read_b64 a[184:185], v60 offset:56320                   // 000000006B44: DAECDC00 B800003C
	ds_read_b64 a[186:187], v60 offset:56576                   // 000000006B4C: DAECDD00 BA00003C
	ds_read_b64 a[188:189], v60 offset:57344                   // 000000006B54: DAECE000 BC00003C
	ds_read_b64 a[190:191], v60 offset:57600                   // 000000006B5C: DAECE100 BE00003C
	v_lshlrev_b32_e32 v60, 2, v0                               // 000000006B64: 24780082
	s_mul_i32 s56, s78, s67                                    // 000000006B68: 9238434E
	v_add_u32_e64 v96, v60, s56                                // 000000006B6C: D1340060 0000713C
	v_mov_b32_e32 v97, 0                                       // 000000006B74: 7EC20280
	s_mul_i32 s56, s79, s67                                    // 000000006B78: 9238434F
	v_add_u32_e64 v98, v60, s56                                // 000000006B7C: D1340062 0000713C
	v_mov_b32_e32 v99, 0                                       // 000000006B84: 7EC60280
	s_mul_i32 s56, s80, s67                                    // 000000006B88: 92384350
	v_add_u32_e64 v100, v60, s56                               // 000000006B8C: D1340064 0000713C
	v_mov_b32_e32 v101, 0                                      // 000000006B94: 7ECA0280
	s_mul_i32 s56, s81, s67                                    // 000000006B98: 92384351
	v_add_u32_e64 v102, v60, s56                               // 000000006B9C: D1340066 0000713C
	v_mov_b32_e32 v103, 0                                      // 000000006BA4: 7ECE0280
	s_mul_i32 s56, s82, s67                                    // 000000006BA8: 92384352
	v_add_u32_e64 v104, v60, s56                               // 000000006BAC: D1340068 0000713C
	v_mov_b32_e32 v105, 0                                      // 000000006BB4: 7ED20280
	s_mul_i32 s56, s83, s67                                    // 000000006BB8: 92384353
	v_add_u32_e64 v106, v60, s56                               // 000000006BBC: D134006A 0000713C
	v_mov_b32_e32 v107, 0                                      // 000000006BC4: 7ED60280
	s_mul_i32 s56, s84, s67                                    // 000000006BC8: 92384354
	v_add_u32_e64 v108, v60, s56                               // 000000006BCC: D134006C 0000713C
	v_mov_b32_e32 v109, 0                                      // 000000006BD4: 7EDA0280
	s_mul_i32 s56, s85, s67                                    // 000000006BD8: 92384355
	v_add_u32_e64 v110, v60, s56                               // 000000006BDC: D134006E 0000713C
	v_mov_b32_e32 v111, 0                                      // 000000006BE4: 7EDE0280
	s_mul_i32 s56, s86, s67                                    // 000000006BE8: 92384356
	v_add_u32_e64 v112, v60, s56                               // 000000006BEC: D1340070 0000713C
	v_mov_b32_e32 v113, 0                                      // 000000006BF4: 7EE20280
	s_mul_i32 s56, s87, s67                                    // 000000006BF8: 92384357
	v_add_u32_e64 v114, v60, s56                               // 000000006BFC: D1340072 0000713C
	v_mov_b32_e32 v115, 0                                      // 000000006C04: 7EE60280
	s_mul_i32 s56, s88, s67                                    // 000000006C08: 92384358
	v_add_u32_e64 v116, v60, s56                               // 000000006C0C: D1340074 0000713C
	v_mov_b32_e32 v117, 0                                      // 000000006C14: 7EEA0280
	s_mul_i32 s56, s89, s67                                    // 000000006C18: 92384359
	v_add_u32_e64 v118, v60, s56                               // 000000006C1C: D1340076 0000713C
	v_mov_b32_e32 v119, 0                                      // 000000006C24: 7EEE0280
	s_mul_i32 s56, s90, s67                                    // 000000006C28: 9238435A
	v_add_u32_e64 v120, v60, s56                               // 000000006C2C: D1340078 0000713C
	v_mov_b32_e32 v121, 0                                      // 000000006C34: 7EF20280
	s_mul_i32 s56, s91, s67                                    // 000000006C38: 9238435B
	v_add_u32_e64 v122, v60, s56                               // 000000006C3C: D134007A 0000713C
	v_mov_b32_e32 v123, 0                                      // 000000006C44: 7EF60280
	s_mul_i32 s56, s92, s67                                    // 000000006C48: 9238435C
	v_add_u32_e64 v124, v60, s56                               // 000000006C4C: D134007C 0000713C
	v_mov_b32_e32 v125, 0                                      // 000000006C54: 7EFA0280
	s_mul_i32 s56, s93, s67                                    // 000000006C58: 9238435D
	v_add_u32_e64 v126, v60, s56                               // 000000006C5C: D134007E 0000713C
	v_mov_b32_e32 v127, 0                                      // 000000006C64: 7EFE0280
	s_add_u32 s12, s52, s12                                    // 000000006C68: 800C0C34
	s_addc_u32 s13, 0, s13                                     // 000000006C6C: 820D0D80
	s_add_u32 s16, s75, s16                                    // 000000006C70: 8010104B
	s_addc_u32 s17, 0, s17                                     // 000000006C74: 82111180
	s_mov_b32 s76, 0                                           // 000000006C78: BECC0080
	s_waitcnt vmcnt(0) expcnt(0) lgkmcnt(0)                    // 000000006C7C: BF8C0000

0000000000006c80 <label_0FA0>:
	s_waitcnt vmcnt(12)                                        // 000000006C80: BF8C0F7C
	s_barrier                                                  // 000000006C84: BF8A0000
	v_mfma_f32_16x16x128_f8f6f4 v[128:131], a[0:7], a[128:135], 0// 000000006C88: D3AD0080 1A030100
	v_mfma_f32_16x16x128_f8f6f4 v[132:135], a[0:7], a[144:151], 0// 000000006C90: D3AD0084 1A032100
	buffer_load_dwordx4 a[64:67], v51, s[12:15], 0 offen       // 000000006C98: E05C1000 80834033
	buffer_load_dwordx4 a[68:71], v51, s[12:15], 0 offen offset:1024// 000000006CA0: E05C1400 80834433
	v_mfma_f32_16x16x128_f8f6f4 v[136:139], a[0:7], a[160:167], 0// 000000006CA8: D3AD0088 1A034100
	v_mfma_f32_16x16x128_f8f6f4 v[140:143], a[0:7], a[176:183], 0// 000000006CB0: D3AD008C 1A036100
	buffer_load_dwordx4 a[72:75], v52, s[12:15], 0 offen       // 000000006CB8: E05C1000 80834834
	buffer_load_dwordx4 a[76:79], v52, s[12:15], 0 offen offset:1024// 000000006CC0: E05C1400 80834C34
	buffer_load_dword v38, v8, s[16:19], 0 offen               // 000000006CC8: E0501000 80042608
	s_waitcnt vmcnt(13)                                        // 000000006CD0: BF8C0F7D
	v_mfma_f32_16x16x128_f8f6f4 v[144:147], a[8:15], a[128:135], 0// 000000006CD4: D3AD0090 1A030108
	v_mfma_f32_16x16x128_f8f6f4 v[148:151], a[8:15], a[144:151], 0// 000000006CDC: D3AD0094 1A032108
	buffer_load_dwordx4 a[80:83], v53, s[12:15], 0 offen       // 000000006CE4: E05C1000 80835035
	buffer_load_dwordx4 a[84:87], v53, s[12:15], 0 offen offset:1024// 000000006CEC: E05C1400 80835435
	v_mfma_f32_16x16x128_f8f6f4 v[152:155], a[8:15], a[160:167], 0// 000000006CF4: D3AD0098 1A034108
	v_mfma_f32_16x16x128_f8f6f4 v[156:159], a[8:15], a[176:183], 0// 000000006CFC: D3AD009C 1A036108
	buffer_load_dwordx4 a[88:91], v54, s[12:15], 0 offen       // 000000006D04: E05C1000 80835836
	buffer_load_dwordx4 a[92:95], v54, s[12:15], 0 offen offset:1024// 000000006D0C: E05C1400 80835C36
	s_add_u32 s12, s74, s12                                    // 000000006D14: 800C0C4A
	s_addc_u32 s13, 0, s13                                     // 000000006D18: 820D0D80
	s_waitcnt vmcnt(13)                                        // 000000006D1C: BF8C0F7D
	v_mfma_f32_16x16x128_f8f6f4 v[160:163], a[16:23], a[128:135], 0// 000000006D20: D3AD00A0 1A030110
	v_mfma_f32_16x16x128_f8f6f4 v[164:167], a[16:23], a[144:151], 0// 000000006D28: D3AD00A4 1A032110
	buffer_load_dwordx4 a[96:99], v51, s[12:15], 0 offen       // 000000006D30: E05C1000 80836033
	buffer_load_dwordx4 a[100:103], v51, s[12:15], 0 offen offset:1024// 000000006D38: E05C1400 80836433
	v_mfma_f32_16x16x128_f8f6f4 v[168:171], a[16:23], a[160:167], 0// 000000006D40: D3AD00A8 1A034110
	v_mfma_f32_16x16x128_f8f6f4 v[172:175], a[16:23], a[176:183], 0// 000000006D48: D3AD00AC 1A036110
	buffer_load_dwordx4 a[104:107], v52, s[12:15], 0 offen     // 000000006D50: E05C1000 80836834
	buffer_load_dwordx4 a[108:111], v52, s[12:15], 0 offen offset:1024// 000000006D58: E05C1400 80836C34
	s_waitcnt vmcnt(13)                                        // 000000006D60: BF8C0F7D
	v_mfma_f32_16x16x128_f8f6f4 v[176:179], a[24:31], a[128:135], 0// 000000006D64: D3AD00B0 1A030118
	v_mfma_f32_16x16x128_f8f6f4 v[180:183], a[24:31], a[144:151], 0// 000000006D6C: D3AD00B4 1A032118
	buffer_load_dwordx4 a[112:115], v53, s[12:15], 0 offen     // 000000006D74: E05C1000 80837035
	buffer_load_dwordx4 a[116:119], v53, s[12:15], 0 offen offset:1024// 000000006D7C: E05C1400 80837435
	v_mfma_f32_16x16x128_f8f6f4 v[184:187], a[24:31], a[160:167], 0// 000000006D84: D3AD00B8 1A034118
	v_mfma_f32_16x16x128_f8f6f4 v[188:191], a[24:31], a[176:183], 0// 000000006D8C: D3AD00BC 1A036118
	buffer_load_dwordx4 a[120:123], v54, s[12:15], 0 offen     // 000000006D94: E05C1000 80837836
	buffer_load_dwordx4 a[124:127], v54, s[12:15], 0 offen offset:1024// 000000006D9C: E05C1400 80837C36
	v_mul_f32_dpp v60, v37, v21 row_newbcast:0 row_mask:0xf bank_mask:0xf// 000000006DA4: 0A782AFA FF015025
	v_mov_b32_e32 v61, v60                                     // 000000006DAC: 7E7A033C
	v_pk_mul_f32 v[128:129], v[60:61], v[128:129]              // 000000006DB0: D3B14080 1803013C
	v_pk_mul_f32 v[130:131], v[60:61], v[130:131]              // 000000006DB8: D3B14082 1803053C
	v_pk_mul_f32 v[144:145], v[60:61], v[144:145]              // 000000006DC0: D3B14090 1803213C
	v_pk_mul_f32 v[146:147], v[60:61], v[146:147]              // 000000006DC8: D3B14092 1803253C
	v_mul_f32_dpp v60, v37, v21 row_newbcast:1 row_mask:0xf bank_mask:0xf// 000000006DD0: 0A782AFA FF015125
	v_mov_b32_e32 v61, v60                                     // 000000006DD8: 7E7A033C
	v_pk_mul_f32 v[160:161], v[60:61], v[160:161]              // 000000006DDC: D3B140A0 1803413C
	v_pk_mul_f32 v[162:163], v[60:61], v[162:163]              // 000000006DE4: D3B140A2 1803453C
	v_pk_mul_f32 v[176:177], v[60:61], v[176:177]              // 000000006DEC: D3B140B0 1803613C
	v_pk_mul_f32 v[178:179], v[60:61], v[178:179]              // 000000006DF4: D3B140B2 1803653C
	v_mul_f32_dpp v60, v37, v22 row_newbcast:0 row_mask:0xf bank_mask:0xf// 000000006DFC: 0A782CFA FF015025
	v_mov_b32_e32 v61, v60                                     // 000000006E04: 7E7A033C
	v_pk_mul_f32 v[132:133], v[60:61], v[132:133]              // 000000006E08: D3B14084 1803093C
	v_pk_mul_f32 v[134:135], v[60:61], v[134:135]              // 000000006E10: D3B14086 18030D3C
	v_pk_mul_f32 v[148:149], v[60:61], v[148:149]              // 000000006E18: D3B14094 1803293C
	v_pk_mul_f32 v[150:151], v[60:61], v[150:151]              // 000000006E20: D3B14096 18032D3C
	v_mul_f32_dpp v60, v37, v22 row_newbcast:1 row_mask:0xf bank_mask:0xf// 000000006E28: 0A782CFA FF015125
	v_mov_b32_e32 v61, v60                                     // 000000006E30: 7E7A033C
	v_pk_mul_f32 v[164:165], v[60:61], v[164:165]              // 000000006E34: D3B140A4 1803493C
	v_pk_mul_f32 v[166:167], v[60:61], v[166:167]              // 000000006E3C: D3B140A6 18034D3C
	v_pk_mul_f32 v[180:181], v[60:61], v[180:181]              // 000000006E44: D3B140B4 1803693C
	v_pk_mul_f32 v[182:183], v[60:61], v[182:183]              // 000000006E4C: D3B140B6 18036D3C
	v_mul_f32_dpp v60, v37, v23 row_newbcast:0 row_mask:0xf bank_mask:0xf// 000000006E54: 0A782EFA FF015025
	v_mov_b32_e32 v61, v60                                     // 000000006E5C: 7E7A033C
	v_pk_mul_f32 v[136:137], v[60:61], v[136:137]              // 000000006E60: D3B14088 1803113C
	v_pk_mul_f32 v[138:139], v[60:61], v[138:139]              // 000000006E68: D3B1408A 1803153C
	v_pk_mul_f32 v[152:153], v[60:61], v[152:153]              // 000000006E70: D3B14098 1803313C
	v_pk_mul_f32 v[154:155], v[60:61], v[154:155]              // 000000006E78: D3B1409A 1803353C
	v_mul_f32_dpp v60, v37, v23 row_newbcast:1 row_mask:0xf bank_mask:0xf// 000000006E80: 0A782EFA FF015125
	v_mov_b32_e32 v61, v60                                     // 000000006E88: 7E7A033C
	v_pk_mul_f32 v[168:169], v[60:61], v[168:169]              // 000000006E8C: D3B140A8 1803513C
	v_pk_mul_f32 v[170:171], v[60:61], v[170:171]              // 000000006E94: D3B140AA 1803553C
	v_pk_mul_f32 v[184:185], v[60:61], v[184:185]              // 000000006E9C: D3B140B8 1803713C
	v_pk_mul_f32 v[186:187], v[60:61], v[186:187]              // 000000006EA4: D3B140BA 1803753C
	v_mul_f32_dpp v60, v37, v24 row_newbcast:0 row_mask:0xf bank_mask:0xf// 000000006EAC: 0A7830FA FF015025
	v_mov_b32_e32 v61, v60                                     // 000000006EB4: 7E7A033C
	v_pk_mul_f32 v[140:141], v[60:61], v[140:141]              // 000000006EB8: D3B1408C 1803193C
	v_pk_mul_f32 v[142:143], v[60:61], v[142:143]              // 000000006EC0: D3B1408E 18031D3C
	v_pk_mul_f32 v[156:157], v[60:61], v[156:157]              // 000000006EC8: D3B1409C 1803393C
	v_pk_mul_f32 v[158:159], v[60:61], v[158:159]              // 000000006ED0: D3B1409E 18033D3C
	v_mul_f32_dpp v60, v37, v24 row_newbcast:1 row_mask:0xf bank_mask:0xf// 000000006ED8: 0A7830FA FF015125
	v_mov_b32_e32 v61, v60                                     // 000000006EE0: 7E7A033C
	v_pk_mul_f32 v[172:173], v[60:61], v[172:173]              // 000000006EE4: D3B140AC 1803593C
	v_pk_mul_f32 v[174:175], v[60:61], v[174:175]              // 000000006EEC: D3B140AE 18035D3C
	v_pk_mul_f32 v[188:189], v[60:61], v[188:189]              // 000000006EF4: D3B140BC 1803793C
	v_pk_mul_f32 v[190:191], v[60:61], v[190:191]              // 000000006EFC: D3B140BE 18037D3C
	s_waitcnt vmcnt(13)                                        // 000000006F04: BF8C0F7D
	v_mfma_f32_16x16x128_f8f6f4 v[192:195], a[32:39], a[136:143], 0// 000000006F08: D3AD00C0 1A031120
	v_mfma_f32_16x16x128_f8f6f4 v[196:199], a[32:39], a[152:159], 0// 000000006F10: D3AD00C4 1A033120
	v_mfma_f32_16x16x128_f8f6f4 v[200:203], a[32:39], a[168:175], 0// 000000006F18: D3AD00C8 1A035120
	v_mfma_f32_16x16x128_f8f6f4 v[204:207], a[32:39], a[184:191], 0// 000000006F20: D3AD00CC 1A037120
	s_waitcnt vmcnt(13)                                        // 000000006F28: BF8C0F7D
	v_mfma_f32_16x16x128_f8f6f4 v[208:211], a[40:47], a[136:143], 0// 000000006F2C: D3AD00D0 1A031128
	v_mfma_f32_16x16x128_f8f6f4 v[212:215], a[40:47], a[152:159], 0// 000000006F34: D3AD00D4 1A033128
	v_mfma_f32_16x16x128_f8f6f4 v[216:219], a[40:47], a[168:175], 0// 000000006F3C: D3AD00D8 1A035128
	v_mfma_f32_16x16x128_f8f6f4 v[220:223], a[40:47], a[184:191], 0// 000000006F44: D3AD00DC 1A037128
	s_waitcnt vmcnt(13)                                        // 000000006F4C: BF8C0F7D
	v_mfma_f32_16x16x128_f8f6f4 v[224:227], a[48:55], a[136:143], 0// 000000006F50: D3AD00E0 1A031130
	v_mfma_f32_16x16x128_f8f6f4 v[228:231], a[48:55], a[152:159], 0// 000000006F58: D3AD00E4 1A033130
	v_mfma_f32_16x16x128_f8f6f4 v[232:235], a[48:55], a[168:175], 0// 000000006F60: D3AD00E8 1A035130
	v_mfma_f32_16x16x128_f8f6f4 v[236:239], a[48:55], a[184:191], 0// 000000006F68: D3AD00EC 1A037130
	s_waitcnt vmcnt(13)                                        // 000000006F70: BF8C0F7D
	v_mfma_f32_16x16x128_f8f6f4 v[240:243], a[56:63], a[136:143], 0// 000000006F74: D3AD00F0 1A031138
	v_mfma_f32_16x16x128_f8f6f4 v[244:247], a[56:63], a[152:159], 0// 000000006F7C: D3AD00F4 1A033138
	v_mfma_f32_16x16x128_f8f6f4 v[248:251], a[56:63], a[168:175], 0// 000000006F84: D3AD00F8 1A035138
	v_mfma_f32_16x16x128_f8f6f4 v[252:255], a[56:63], a[184:191], 0// 000000006F8C: D3AD00FC 1A037138
	v_mul_f32_dpp v60, v37, v25 row_newbcast:2 row_mask:0xf bank_mask:0xf// 000000006F94: 0A7832FA FF015225
	v_mov_b32_e32 v61, v60                                     // 000000006F9C: 7E7A033C
	v_pk_fma_f32 v[128:129], v[192:193], v[60:61], v[128:129]  // 000000006FA0: D3B04080 1E0279C0
	v_pk_fma_f32 v[130:131], v[194:195], v[60:61], v[130:131]  // 000000006FA8: D3B04082 1E0A79C2
	v_pk_fma_f32 v[144:145], v[208:209], v[60:61], v[144:145]  // 000000006FB0: D3B04090 1E4279D0
	v_pk_fma_f32 v[146:147], v[210:211], v[60:61], v[146:147]  // 000000006FB8: D3B04092 1E4A79D2
	v_mul_f32_dpp v60, v37, v25 row_newbcast:3 row_mask:0xf bank_mask:0xf// 000000006FC0: 0A7832FA FF015325
	v_mov_b32_e32 v61, v60                                     // 000000006FC8: 7E7A033C
	v_pk_fma_f32 v[160:161], v[224:225], v[60:61], v[160:161]  // 000000006FCC: D3B040A0 1E8279E0
	v_pk_fma_f32 v[162:163], v[226:227], v[60:61], v[162:163]  // 000000006FD4: D3B040A2 1E8A79E2
	v_pk_fma_f32 v[176:177], v[240:241], v[60:61], v[176:177]  // 000000006FDC: D3B040B0 1EC279F0
	v_pk_fma_f32 v[178:179], v[242:243], v[60:61], v[178:179]  // 000000006FE4: D3B040B2 1ECA79F2
	v_mul_f32_dpp v60, v37, v26 row_newbcast:2 row_mask:0xf bank_mask:0xf// 000000006FEC: 0A7834FA FF015225
	v_mov_b32_e32 v61, v60                                     // 000000006FF4: 7E7A033C
	v_pk_fma_f32 v[132:133], v[196:197], v[60:61], v[132:133]  // 000000006FF8: D3B04084 1E1279C4
	v_pk_fma_f32 v[134:135], v[198:199], v[60:61], v[134:135]  // 000000007000: D3B04086 1E1A79C6
	v_pk_fma_f32 v[148:149], v[212:213], v[60:61], v[148:149]  // 000000007008: D3B04094 1E5279D4
	v_pk_fma_f32 v[150:151], v[214:215], v[60:61], v[150:151]  // 000000007010: D3B04096 1E5A79D6
	v_mul_f32_dpp v60, v37, v26 row_newbcast:3 row_mask:0xf bank_mask:0xf// 000000007018: 0A7834FA FF015325
	v_mov_b32_e32 v61, v60                                     // 000000007020: 7E7A033C
	v_pk_fma_f32 v[164:165], v[228:229], v[60:61], v[164:165]  // 000000007024: D3B040A4 1E9279E4
	v_pk_fma_f32 v[166:167], v[230:231], v[60:61], v[166:167]  // 00000000702C: D3B040A6 1E9A79E6
	v_pk_fma_f32 v[180:181], v[244:245], v[60:61], v[180:181]  // 000000007034: D3B040B4 1ED279F4
	v_pk_fma_f32 v[182:183], v[246:247], v[60:61], v[182:183]  // 00000000703C: D3B040B6 1EDA79F6
	v_mul_f32_dpp v60, v37, v27 row_newbcast:2 row_mask:0xf bank_mask:0xf// 000000007044: 0A7836FA FF015225
	v_mov_b32_e32 v61, v60                                     // 00000000704C: 7E7A033C
	v_pk_fma_f32 v[136:137], v[200:201], v[60:61], v[136:137]  // 000000007050: D3B04088 1E2279C8
	v_pk_fma_f32 v[138:139], v[202:203], v[60:61], v[138:139]  // 000000007058: D3B0408A 1E2A79CA
	v_pk_fma_f32 v[152:153], v[216:217], v[60:61], v[152:153]  // 000000007060: D3B04098 1E6279D8
	v_pk_fma_f32 v[154:155], v[218:219], v[60:61], v[154:155]  // 000000007068: D3B0409A 1E6A79DA
	v_mul_f32_dpp v60, v37, v27 row_newbcast:3 row_mask:0xf bank_mask:0xf// 000000007070: 0A7836FA FF015325
	v_mov_b32_e32 v61, v60                                     // 000000007078: 7E7A033C
	v_pk_fma_f32 v[168:169], v[232:233], v[60:61], v[168:169]  // 00000000707C: D3B040A8 1EA279E8
	v_pk_fma_f32 v[170:171], v[234:235], v[60:61], v[170:171]  // 000000007084: D3B040AA 1EAA79EA
	v_pk_fma_f32 v[184:185], v[248:249], v[60:61], v[184:185]  // 00000000708C: D3B040B8 1EE279F8
	v_pk_fma_f32 v[186:187], v[250:251], v[60:61], v[186:187]  // 000000007094: D3B040BA 1EEA79FA
	v_mul_f32_dpp v60, v37, v28 row_newbcast:2 row_mask:0xf bank_mask:0xf// 00000000709C: 0A7838FA FF015225
	v_mov_b32_e32 v61, v60                                     // 0000000070A4: 7E7A033C
	v_pk_fma_f32 v[140:141], v[204:205], v[60:61], v[140:141]  // 0000000070A8: D3B0408C 1E3279CC
	v_pk_fma_f32 v[142:143], v[206:207], v[60:61], v[142:143]  // 0000000070B0: D3B0408E 1E3A79CE
	v_pk_fma_f32 v[156:157], v[220:221], v[60:61], v[156:157]  // 0000000070B8: D3B0409C 1E7279DC
	v_pk_fma_f32 v[158:159], v[222:223], v[60:61], v[158:159]  // 0000000070C0: D3B0409E 1E7A79DE
	v_mul_f32_dpp v60, v37, v28 row_newbcast:3 row_mask:0xf bank_mask:0xf// 0000000070C8: 0A7838FA FF015325
	v_mov_b32_e32 v61, v60                                     // 0000000070D0: 7E7A033C
	v_pk_fma_f32 v[172:173], v[236:237], v[60:61], v[172:173]  // 0000000070D4: D3B040AC 1EB279EC
	v_pk_fma_f32 v[174:175], v[238:239], v[60:61], v[174:175]  // 0000000070DC: D3B040AE 1EBA79EE
	v_pk_fma_f32 v[188:189], v[252:253], v[60:61], v[188:189]  // 0000000070E4: D3B040BC 1EF279FC
	v_pk_fma_f32 v[190:191], v[254:255], v[60:61], v[190:191]  // 0000000070EC: D3B040BE 1EFA79FE
	s_add_u32 s56, 0x200, s76                                  // 0000000070F4: 80384CFF 00000200
	s_cmp_lt_u32 s56, s77                                      // 0000000070FC: BF0A4D38
	s_cselect_b32 s52, s52, 0                                  // 000000007100: 85348034
	s_cselect_b32 s74, s74, 0                                  // 000000007104: 854A804A
	s_cselect_b32 s75, s75, 0                                  // 000000007108: 854B804B
	s_add_u32 s12, s52, s12                                    // 00000000710C: 800C0C34
	s_addc_u32 s13, 0, s13                                     // 000000007110: 820D0D80
	s_add_u32 s16, s75, s16                                    // 000000007114: 8010104B
	s_addc_u32 s17, 0, s17                                     // 000000007118: 82111180
	v_mov_b32_e32 v60, v39                                     // 00000000711C: 7E780327
	v_mov_b32_e32 v61, v39                                     // 000000007120: 7E7A0327
	v_pk_mul_f32 v[128:129], v[60:61], v[128:129]              // 000000007124: D3B14080 1803013C
	v_pk_mul_f32 v[130:131], v[60:61], v[130:131]              // 00000000712C: D3B14082 1803053C
	v_pk_mul_f32 v[144:145], v[60:61], v[144:145]              // 000000007134: D3B14090 1803213C
	v_pk_mul_f32 v[146:147], v[60:61], v[146:147]              // 00000000713C: D3B14092 1803253C
	v_pk_mul_f32 v[160:161], v[60:61], v[160:161]              // 000000007144: D3B140A0 1803413C
	v_pk_mul_f32 v[162:163], v[60:61], v[162:163]              // 00000000714C: D3B140A2 1803453C
	v_pk_mul_f32 v[176:177], v[60:61], v[176:177]              // 000000007154: D3B140B0 1803613C
	v_pk_mul_f32 v[178:179], v[60:61], v[178:179]              // 00000000715C: D3B140B2 1803653C
	v_mov_b32_e32 v60, v40                                     // 000000007164: 7E780328
	v_mov_b32_e32 v61, v40                                     // 000000007168: 7E7A0328
	v_pk_mul_f32 v[132:133], v[60:61], v[132:133]              // 00000000716C: D3B14084 1803093C
	v_pk_mul_f32 v[134:135], v[60:61], v[134:135]              // 000000007174: D3B14086 18030D3C
	v_pk_mul_f32 v[148:149], v[60:61], v[148:149]              // 00000000717C: D3B14094 1803293C
	v_pk_mul_f32 v[150:151], v[60:61], v[150:151]              // 000000007184: D3B14096 18032D3C
	v_pk_mul_f32 v[164:165], v[60:61], v[164:165]              // 00000000718C: D3B140A4 1803493C
	v_pk_mul_f32 v[166:167], v[60:61], v[166:167]              // 000000007194: D3B140A6 18034D3C
	v_pk_mul_f32 v[180:181], v[60:61], v[180:181]              // 00000000719C: D3B140B4 1803693C
	v_pk_mul_f32 v[182:183], v[60:61], v[182:183]              // 0000000071A4: D3B140B6 18036D3C
	v_mov_b32_e32 v60, v41                                     // 0000000071AC: 7E780329
	v_mov_b32_e32 v61, v41                                     // 0000000071B0: 7E7A0329
	v_pk_mul_f32 v[136:137], v[60:61], v[136:137]              // 0000000071B4: D3B14088 1803113C
	v_pk_mul_f32 v[138:139], v[60:61], v[138:139]              // 0000000071BC: D3B1408A 1803153C
	v_pk_mul_f32 v[152:153], v[60:61], v[152:153]              // 0000000071C4: D3B14098 1803313C
	v_pk_mul_f32 v[154:155], v[60:61], v[154:155]              // 0000000071CC: D3B1409A 1803353C
	v_pk_mul_f32 v[168:169], v[60:61], v[168:169]              // 0000000071D4: D3B140A8 1803513C
	v_pk_mul_f32 v[170:171], v[60:61], v[170:171]              // 0000000071DC: D3B140AA 1803553C
	v_pk_mul_f32 v[184:185], v[60:61], v[184:185]              // 0000000071E4: D3B140B8 1803713C
	v_pk_mul_f32 v[186:187], v[60:61], v[186:187]              // 0000000071EC: D3B140BA 1803753C
	v_mov_b32_e32 v60, v42                                     // 0000000071F4: 7E78032A
	v_mov_b32_e32 v61, v42                                     // 0000000071F8: 7E7A032A
	v_pk_mul_f32 v[140:141], v[60:61], v[140:141]              // 0000000071FC: D3B1408C 1803193C
	v_pk_mul_f32 v[142:143], v[60:61], v[142:143]              // 000000007204: D3B1408E 18031D3C
	v_pk_mul_f32 v[156:157], v[60:61], v[156:157]              // 00000000720C: D3B1409C 1803393C
	v_pk_mul_f32 v[158:159], v[60:61], v[158:159]              // 000000007214: D3B1409E 18033D3C
	v_pk_mul_f32 v[172:173], v[60:61], v[172:173]              // 00000000721C: D3B140AC 1803593C
	v_pk_mul_f32 v[174:175], v[60:61], v[174:175]              // 000000007224: D3B140AE 18035D3C
	v_pk_mul_f32 v[188:189], v[60:61], v[188:189]              // 00000000722C: D3B140BC 1803793C
	v_pk_mul_f32 v[190:191], v[60:61], v[190:191]              // 000000007234: D3B140BE 18037D3C
	v_cvt_pk_bf16_f32 v128, v128, v129                         // 00000000723C: D2680080 00030380
	v_cvt_pk_bf16_f32 v129, v130, v131                         // 000000007244: D2680081 00030782
	v_cvt_pk_bf16_f32 v130, v132, v133                         // 00000000724C: D2680082 00030B84
	v_cvt_pk_bf16_f32 v131, v134, v135                         // 000000007254: D2680083 00030F86
	v_cvt_pk_bf16_f32 v132, v136, v137                         // 00000000725C: D2680084 00031388
	v_cvt_pk_bf16_f32 v133, v138, v139                         // 000000007264: D2680085 0003178A
	v_cvt_pk_bf16_f32 v134, v140, v141                         // 00000000726C: D2680086 00031B8C
	v_cvt_pk_bf16_f32 v135, v142, v143                         // 000000007274: D2680087 00031F8E
	v_cvt_pk_bf16_f32 v136, v144, v145                         // 00000000727C: D2680088 00032390
	v_cvt_pk_bf16_f32 v137, v146, v147                         // 000000007284: D2680089 00032792
	v_cvt_pk_bf16_f32 v138, v148, v149                         // 00000000728C: D268008A 00032B94
	v_cvt_pk_bf16_f32 v139, v150, v151                         // 000000007294: D268008B 00032F96
	v_cvt_pk_bf16_f32 v140, v152, v153                         // 00000000729C: D268008C 00033398
	v_cvt_pk_bf16_f32 v141, v154, v155                         // 0000000072A4: D268008D 0003379A
	v_cvt_pk_bf16_f32 v142, v156, v157                         // 0000000072AC: D268008E 00033B9C
	v_cvt_pk_bf16_f32 v143, v158, v159                         // 0000000072B4: D268008F 00033F9E
	v_cvt_pk_bf16_f32 v144, v160, v161                         // 0000000072BC: D2680090 000343A0
	v_cvt_pk_bf16_f32 v145, v162, v163                         // 0000000072C4: D2680091 000347A2
	v_cvt_pk_bf16_f32 v146, v164, v165                         // 0000000072CC: D2680092 00034BA4
	v_cvt_pk_bf16_f32 v147, v166, v167                         // 0000000072D4: D2680093 00034FA6
	v_cvt_pk_bf16_f32 v148, v168, v169                         // 0000000072DC: D2680094 000353A8
	v_cvt_pk_bf16_f32 v149, v170, v171                         // 0000000072E4: D2680095 000357AA
	v_cvt_pk_bf16_f32 v150, v172, v173                         // 0000000072EC: D2680096 00035BAC
	v_cvt_pk_bf16_f32 v151, v174, v175                         // 0000000072F4: D2680097 00035FAE
	v_cvt_pk_bf16_f32 v152, v176, v177                         // 0000000072FC: D2680098 000363B0
	v_cvt_pk_bf16_f32 v153, v178, v179                         // 000000007304: D2680099 000367B2
	v_cvt_pk_bf16_f32 v154, v180, v181                         // 00000000730C: D268009A 00036BB4
	v_cvt_pk_bf16_f32 v155, v182, v183                         // 000000007314: D268009B 00036FB6
	v_cvt_pk_bf16_f32 v156, v184, v185                         // 00000000731C: D268009C 000373B8
	v_cvt_pk_bf16_f32 v157, v186, v187                         // 000000007324: D268009D 000377BA
	v_cvt_pk_bf16_f32 v158, v188, v189                         // 00000000732C: D268009E 00037BBC
	v_cvt_pk_bf16_f32 v159, v190, v191                         // 000000007334: D268009F 00037FBE
	ds_write_b64 v4, v[128:129]                                // 00000000733C: D89A0000 00008004
	ds_write_b64 v4, v[130:131] offset:8704                    // 000000007344: D89A2200 00008204
	ds_write_b64 v5, v[132:133]                                // 00000000734C: D89A0000 00008405
	ds_write_b64 v5, v[134:135] offset:8704                    // 000000007354: D89A2200 00008605
	ds_write_b64 v4, v[136:137] offset:2176                    // 00000000735C: D89A0880 00008804
	ds_write_b64 v4, v[138:139] offset:10880                   // 000000007364: D89A2A80 00008A04
	ds_write_b64 v5, v[140:141] offset:2176                    // 00000000736C: D89A0880 00008C05
	ds_write_b64 v5, v[142:143] offset:10880                   // 000000007374: D89A2A80 00008E05
	ds_write_b64 v4, v[144:145] offset:4352                    // 00000000737C: D89A1100 00009004
	ds_write_b64 v4, v[146:147] offset:13056                   // 000000007384: D89A3300 00009204
	ds_write_b64 v5, v[148:149] offset:4352                    // 00000000738C: D89A1100 00009405
	ds_write_b64 v5, v[150:151] offset:13056                   // 000000007394: D89A3300 00009605
	ds_write_b64 v4, v[152:153] offset:6528                    // 00000000739C: D89A1980 00009804
	ds_write_b64 v4, v[154:155] offset:15232                   // 0000000073A4: D89A3B80 00009A04
	ds_write_b64 v5, v[156:157] offset:6528                    // 0000000073AC: D89A1980 00009C05
	ds_write_b64 v5, v[158:159] offset:15232                   // 0000000073B4: D89A3B80 00009E05
	s_waitcnt lgkmcnt(0)                                       // 0000000073BC: BF8CC07F
	s_barrier                                                  // 0000000073C0: BF8A0000
	ds_read_b32 v64, v6                                        // 0000000073C4: D86C0000 40000006
	ds_read_b32 v65, v6 offset:4352                            // 0000000073CC: D86C1100 41000006
	ds_read_b32 v66, v6 offset:8                               // 0000000073D4: D86C0008 42000006
	ds_read_b32 v67, v6 offset:4360                            // 0000000073DC: D86C1108 43000006
	ds_read_b32 v68, v6 offset:32                              // 0000000073E4: D86C0020 44000006
	ds_read_b32 v69, v6 offset:4384                            // 0000000073EC: D86C1120 45000006
	ds_read_b32 v70, v6 offset:40                              // 0000000073F4: D86C0028 46000006
	ds_read_b32 v71, v6 offset:4392                            // 0000000073FC: D86C1128 47000006
	ds_read_b32 v72, v6 offset:8704                            // 000000007404: D86C2200 48000006
	ds_read_b32 v73, v6 offset:13056                           // 00000000740C: D86C3300 49000006
	ds_read_b32 v74, v6 offset:8712                            // 000000007414: D86C2208 4A000006
	ds_read_b32 v75, v6 offset:13064                           // 00000000741C: D86C3308 4B000006
	ds_read_b32 v76, v6 offset:8736                            // 000000007424: D86C2220 4C000006
	ds_read_b32 v77, v6 offset:13088                           // 00000000742C: D86C3320 4D000006
	ds_read_b32 v78, v6 offset:8744                            // 000000007434: D86C2228 4E000006
	ds_read_b32 v79, v6 offset:13096                           // 00000000743C: D86C3328 4F000006
	ds_read_b32 v80, v7                                        // 000000007444: D86C0000 50000007
	ds_read_b32 v81, v7 offset:4352                            // 00000000744C: D86C1100 51000007
	ds_read_b32 v82, v7 offset:8                               // 000000007454: D86C0008 52000007
	ds_read_b32 v83, v7 offset:4360                            // 00000000745C: D86C1108 53000007
	ds_read_b32 v84, v7 offset:32                              // 000000007464: D86C0020 54000007
	ds_read_b32 v85, v7 offset:4384                            // 00000000746C: D86C1120 55000007
	ds_read_b32 v86, v7 offset:40                              // 000000007474: D86C0028 56000007
	ds_read_b32 v87, v7 offset:4392                            // 00000000747C: D86C1128 57000007
	ds_read_b32 v88, v7 offset:8704                            // 000000007484: D86C2200 58000007
	ds_read_b32 v89, v7 offset:13056                           // 00000000748C: D86C3300 59000007
	ds_read_b32 v90, v7 offset:8712                            // 000000007494: D86C2208 5A000007
	ds_read_b32 v91, v7 offset:13064                           // 00000000749C: D86C3308 5B000007
	ds_read_b32 v92, v7 offset:8736                            // 0000000074A4: D86C2220 5C000007
	ds_read_b32 v93, v7 offset:13088                           // 0000000074AC: D86C3320 5D000007
	ds_read_b32 v94, v7 offset:8744                            // 0000000074B4: D86C2228 5E000007
	ds_read_b32 v95, v7 offset:13096                           // 0000000074BC: D86C3328 5F000007
	s_waitcnt lgkmcnt(0)                                       // 0000000074C4: BF8CC07F
	s_setvskip s20, 0                                          // 0000000074C8: BF108014
	global_atomic_pk_add_bf16 v96, v64, s[8:9]                 // 0000000074CC: DD488000 00084060
	s_setvskip 0, 0                                            // 0000000074D4: BF108080
	s_setvskip s20, 0                                          // 0000000074D8: BF108014
	global_atomic_pk_add_bf16 v96, v65, s[8:9] offset:256      // 0000000074DC: DD488100 00084160
	s_setvskip 0, 0                                            // 0000000074E4: BF108080
	s_setvskip s20, 1                                          // 0000000074E8: BF108114
	global_atomic_pk_add_bf16 v98, v66, s[8:9]                 // 0000000074EC: DD488000 00084262
	s_setvskip 0, 0                                            // 0000000074F4: BF108080
	s_setvskip s20, 1                                          // 0000000074F8: BF108114
	global_atomic_pk_add_bf16 v98, v67, s[8:9] offset:256      // 0000000074FC: DD488100 00084362
	s_setvskip 0, 0                                            // 000000007504: BF108080
	s_setvskip s20, 2                                          // 000000007508: BF108214
	global_atomic_pk_add_bf16 v100, v68, s[8:9]                // 00000000750C: DD488000 00084464
	s_setvskip 0, 0                                            // 000000007514: BF108080
	s_setvskip s20, 2                                          // 000000007518: BF108214
	global_atomic_pk_add_bf16 v100, v69, s[8:9] offset:256     // 00000000751C: DD488100 00084564
	s_setvskip 0, 0                                            // 000000007524: BF108080
	s_setvskip s20, 3                                          // 000000007528: BF108314
	global_atomic_pk_add_bf16 v102, v70, s[8:9]                // 00000000752C: DD488000 00084666
	s_setvskip 0, 0                                            // 000000007534: BF108080
	s_setvskip s20, 3                                          // 000000007538: BF108314
	global_atomic_pk_add_bf16 v102, v71, s[8:9] offset:256     // 00000000753C: DD488100 00084766
	s_setvskip 0, 0                                            // 000000007544: BF108080
	s_setvskip s20, 4                                          // 000000007548: BF108414
	global_atomic_pk_add_bf16 v104, v72, s[8:9]                // 00000000754C: DD488000 00084868
	s_setvskip 0, 0                                            // 000000007554: BF108080
	s_setvskip s20, 4                                          // 000000007558: BF108414
	global_atomic_pk_add_bf16 v104, v73, s[8:9] offset:256     // 00000000755C: DD488100 00084968
	s_setvskip 0, 0                                            // 000000007564: BF108080
	s_setvskip s20, 5                                          // 000000007568: BF108514
	global_atomic_pk_add_bf16 v106, v74, s[8:9]                // 00000000756C: DD488000 00084A6A
	s_setvskip 0, 0                                            // 000000007574: BF108080
	s_setvskip s20, 5                                          // 000000007578: BF108514
	global_atomic_pk_add_bf16 v106, v75, s[8:9] offset:256     // 00000000757C: DD488100 00084B6A
	s_setvskip 0, 0                                            // 000000007584: BF108080
	s_setvskip s20, 6                                          // 000000007588: BF108614
	global_atomic_pk_add_bf16 v108, v76, s[8:9]                // 00000000758C: DD488000 00084C6C
	s_setvskip 0, 0                                            // 000000007594: BF108080
	s_setvskip s20, 6                                          // 000000007598: BF108614
	global_atomic_pk_add_bf16 v108, v77, s[8:9] offset:256     // 00000000759C: DD488100 00084D6C
	s_setvskip 0, 0                                            // 0000000075A4: BF108080
	s_setvskip s20, 7                                          // 0000000075A8: BF108714
	global_atomic_pk_add_bf16 v110, v78, s[8:9]                // 0000000075AC: DD488000 00084E6E
	s_setvskip 0, 0                                            // 0000000075B4: BF108080
	s_setvskip s20, 7                                          // 0000000075B8: BF108714
	global_atomic_pk_add_bf16 v110, v79, s[8:9] offset:256     // 0000000075BC: DD488100 00084F6E
	s_setvskip 0, 0                                            // 0000000075C4: BF108080
	s_setvskip s20, 8                                          // 0000000075C8: BF108814
	global_atomic_pk_add_bf16 v112, v80, s[8:9]                // 0000000075CC: DD488000 00085070
	s_setvskip 0, 0                                            // 0000000075D4: BF108080
	s_setvskip s20, 8                                          // 0000000075D8: BF108814
	global_atomic_pk_add_bf16 v112, v81, s[8:9] offset:256     // 0000000075DC: DD488100 00085170
	s_setvskip 0, 0                                            // 0000000075E4: BF108080
	s_setvskip s20, 9                                          // 0000000075E8: BF108914
	global_atomic_pk_add_bf16 v114, v82, s[8:9]                // 0000000075EC: DD488000 00085272
	s_setvskip 0, 0                                            // 0000000075F4: BF108080
	s_setvskip s20, 9                                          // 0000000075F8: BF108914
	global_atomic_pk_add_bf16 v114, v83, s[8:9] offset:256     // 0000000075FC: DD488100 00085372
	s_setvskip 0, 0                                            // 000000007604: BF108080
	s_setvskip s20, 10                                         // 000000007608: BF108A14
	global_atomic_pk_add_bf16 v116, v84, s[8:9]                // 00000000760C: DD488000 00085474
	s_setvskip 0, 0                                            // 000000007614: BF108080
	s_setvskip s20, 10                                         // 000000007618: BF108A14
	global_atomic_pk_add_bf16 v116, v85, s[8:9] offset:256     // 00000000761C: DD488100 00085574
	s_setvskip 0, 0                                            // 000000007624: BF108080
	s_setvskip s20, 11                                         // 000000007628: BF108B14
	global_atomic_pk_add_bf16 v118, v86, s[8:9]                // 00000000762C: DD488000 00085676
	s_setvskip 0, 0                                            // 000000007634: BF108080
	s_setvskip s20, 11                                         // 000000007638: BF108B14
	global_atomic_pk_add_bf16 v118, v87, s[8:9] offset:256     // 00000000763C: DD488100 00085776
	s_setvskip 0, 0                                            // 000000007644: BF108080
	s_setvskip s20, 12                                         // 000000007648: BF108C14
	global_atomic_pk_add_bf16 v120, v88, s[8:9]                // 00000000764C: DD488000 00085878
	s_setvskip 0, 0                                            // 000000007654: BF108080
	s_setvskip s20, 12                                         // 000000007658: BF108C14
	global_atomic_pk_add_bf16 v120, v89, s[8:9] offset:256     // 00000000765C: DD488100 00085978
	s_setvskip 0, 0                                            // 000000007664: BF108080
	s_setvskip s20, 13                                         // 000000007668: BF108D14
	global_atomic_pk_add_bf16 v122, v90, s[8:9]                // 00000000766C: DD488000 00085A7A
	s_setvskip 0, 0                                            // 000000007674: BF108080
	s_setvskip s20, 13                                         // 000000007678: BF108D14
	global_atomic_pk_add_bf16 v122, v91, s[8:9] offset:256     // 00000000767C: DD488100 00085B7A
	s_setvskip 0, 0                                            // 000000007684: BF108080
	s_setvskip s20, 14                                         // 000000007688: BF108E14
	global_atomic_pk_add_bf16 v124, v92, s[8:9]                // 00000000768C: DD488000 00085C7C
	s_setvskip 0, 0                                            // 000000007694: BF108080
	s_setvskip s20, 14                                         // 000000007698: BF108E14
	global_atomic_pk_add_bf16 v124, v93, s[8:9] offset:256     // 00000000769C: DD488100 00085D7C
	s_setvskip 0, 0                                            // 0000000076A4: BF108080
	s_setvskip s20, 15                                         // 0000000076A8: BF108F14
	global_atomic_pk_add_bf16 v126, v94, s[8:9]                // 0000000076AC: DD488000 00085E7E
	s_setvskip 0, 0                                            // 0000000076B4: BF108080
	s_setvskip s20, 15                                         // 0000000076B8: BF108F14
	global_atomic_pk_add_bf16 v126, v95, s[8:9] offset:256     // 0000000076BC: DD488100 00085F7E
	s_setvskip 0, 0                                            // 0000000076C4: BF108080
	s_add_u32 s8, s55, s8                                      // 0000000076C8: 80080837
	s_addc_u32 s9, 0, s9                                       // 0000000076CC: 82090980
	s_addk_i32 s76, 0x100                                      // 0000000076D0: B74C0100
	s_cmp_lt_i32 s76, s77                                      // 0000000076D4: BF044D4C
	s_cbranch_scc0 label_14CF                                  // 0000000076D8: BF840298
	s_waitcnt vmcnt(12)                                        // 0000000076DC: BF8C0F7C
	s_barrier                                                  // 0000000076E0: BF8A0000
	v_mfma_f32_16x16x128_f8f6f4 v[192:195], a[64:71], a[128:135], 0// 0000000076E4: D3AD00C0 1A030140
	v_mfma_f32_16x16x128_f8f6f4 v[196:199], a[64:71], a[144:151], 0// 0000000076EC: D3AD00C4 1A032140
	buffer_load_dwordx4 a[0:3], v51, s[12:15], 0 offen         // 0000000076F4: E05C1000 80830033
	buffer_load_dwordx4 a[4:7], v51, s[12:15], 0 offen offset:1024// 0000000076FC: E05C1400 80830433
	v_mfma_f32_16x16x128_f8f6f4 v[200:203], a[64:71], a[160:167], 0// 000000007704: D3AD00C8 1A034140
	v_mfma_f32_16x16x128_f8f6f4 v[204:207], a[64:71], a[176:183], 0// 00000000770C: D3AD00CC 1A036140
	buffer_load_dwordx4 a[8:11], v52, s[12:15], 0 offen        // 000000007714: E05C1000 80830834
	buffer_load_dwordx4 a[12:15], v52, s[12:15], 0 offen offset:1024// 00000000771C: E05C1400 80830C34
	buffer_load_dword v37, v8, s[16:19], 0 offen               // 000000007724: E0501000 80042508
	s_waitcnt vmcnt(13)                                        // 00000000772C: BF8C0F7D
	v_mfma_f32_16x16x128_f8f6f4 v[208:211], a[72:79], a[128:135], 0// 000000007730: D3AD00D0 1A030148
	v_mfma_f32_16x16x128_f8f6f4 v[212:215], a[72:79], a[144:151], 0// 000000007738: D3AD00D4 1A032148
	buffer_load_dwordx4 a[16:19], v53, s[12:15], 0 offen       // 000000007740: E05C1000 80831035
	buffer_load_dwordx4 a[20:23], v53, s[12:15], 0 offen offset:1024// 000000007748: E05C1400 80831435
	v_mfma_f32_16x16x128_f8f6f4 v[216:219], a[72:79], a[160:167], 0// 000000007750: D3AD00D8 1A034148
	v_mfma_f32_16x16x128_f8f6f4 v[220:223], a[72:79], a[176:183], 0// 000000007758: D3AD00DC 1A036148
	buffer_load_dwordx4 a[24:27], v54, s[12:15], 0 offen       // 000000007760: E05C1000 80831836
	buffer_load_dwordx4 a[28:31], v54, s[12:15], 0 offen offset:1024// 000000007768: E05C1400 80831C36
	s_add_u32 s12, s74, s12                                    // 000000007770: 800C0C4A
	s_addc_u32 s13, 0, s13                                     // 000000007774: 820D0D80
	s_waitcnt vmcnt(13)                                        // 000000007778: BF8C0F7D
	v_mfma_f32_16x16x128_f8f6f4 v[224:227], a[80:87], a[128:135], 0// 00000000777C: D3AD00E0 1A030150
	v_mfma_f32_16x16x128_f8f6f4 v[228:231], a[80:87], a[144:151], 0// 000000007784: D3AD00E4 1A032150
	buffer_load_dwordx4 a[32:35], v51, s[12:15], 0 offen       // 00000000778C: E05C1000 80832033
	buffer_load_dwordx4 a[36:39], v51, s[12:15], 0 offen offset:1024// 000000007794: E05C1400 80832433
	v_mfma_f32_16x16x128_f8f6f4 v[232:235], a[80:87], a[160:167], 0// 00000000779C: D3AD00E8 1A034150
	v_mfma_f32_16x16x128_f8f6f4 v[236:239], a[80:87], a[176:183], 0// 0000000077A4: D3AD00EC 1A036150
	buffer_load_dwordx4 a[40:43], v52, s[12:15], 0 offen       // 0000000077AC: E05C1000 80832834
	buffer_load_dwordx4 a[44:47], v52, s[12:15], 0 offen offset:1024// 0000000077B4: E05C1400 80832C34
	s_waitcnt vmcnt(13)                                        // 0000000077BC: BF8C0F7D
	v_mfma_f32_16x16x128_f8f6f4 v[240:243], a[88:95], a[128:135], 0// 0000000077C0: D3AD00F0 1A030158
	v_mfma_f32_16x16x128_f8f6f4 v[244:247], a[88:95], a[144:151], 0// 0000000077C8: D3AD00F4 1A032158
	buffer_load_dwordx4 a[48:51], v53, s[12:15], 0 offen       // 0000000077D0: E05C1000 80833035
	buffer_load_dwordx4 a[52:55], v53, s[12:15], 0 offen offset:1024// 0000000077D8: E05C1400 80833435
	v_mfma_f32_16x16x128_f8f6f4 v[248:251], a[88:95], a[160:167], 0// 0000000077E0: D3AD00F8 1A034158
	v_mfma_f32_16x16x128_f8f6f4 v[252:255], a[88:95], a[176:183], 0// 0000000077E8: D3AD00FC 1A036158
	buffer_load_dwordx4 a[56:59], v54, s[12:15], 0 offen       // 0000000077F0: E05C1000 80833836
	buffer_load_dwordx4 a[60:63], v54, s[12:15], 0 offen offset:1024// 0000000077F8: E05C1400 80833C36
	v_mul_f32_dpp v60, v38, v21 row_newbcast:0 row_mask:0xf bank_mask:0xf// 000000007800: 0A782AFA FF015026
	v_mov_b32_e32 v61, v60                                     // 000000007808: 7E7A033C
	v_pk_mul_f32 v[192:193], v[60:61], v[192:193]              // 00000000780C: D3B140C0 1803813C
	v_pk_mul_f32 v[194:195], v[60:61], v[194:195]              // 000000007814: D3B140C2 1803853C
	v_pk_mul_f32 v[208:209], v[60:61], v[208:209]              // 00000000781C: D3B140D0 1803A13C
	v_pk_mul_f32 v[210:211], v[60:61], v[210:211]              // 000000007824: D3B140D2 1803A53C
	v_mul_f32_dpp v60, v38, v21 row_newbcast:1 row_mask:0xf bank_mask:0xf// 00000000782C: 0A782AFA FF015126
	v_mov_b32_e32 v61, v60                                     // 000000007834: 7E7A033C
	v_pk_mul_f32 v[224:225], v[60:61], v[224:225]              // 000000007838: D3B140E0 1803C13C
	v_pk_mul_f32 v[226:227], v[60:61], v[226:227]              // 000000007840: D3B140E2 1803C53C
	v_pk_mul_f32 v[240:241], v[60:61], v[240:241]              // 000000007848: D3B140F0 1803E13C
	v_pk_mul_f32 v[242:243], v[60:61], v[242:243]              // 000000007850: D3B140F2 1803E53C
	v_mul_f32_dpp v60, v38, v22 row_newbcast:0 row_mask:0xf bank_mask:0xf// 000000007858: 0A782CFA FF015026
	v_mov_b32_e32 v61, v60                                     // 000000007860: 7E7A033C
	v_pk_mul_f32 v[196:197], v[60:61], v[196:197]              // 000000007864: D3B140C4 1803893C
	v_pk_mul_f32 v[198:199], v[60:61], v[198:199]              // 00000000786C: D3B140C6 18038D3C
	v_pk_mul_f32 v[212:213], v[60:61], v[212:213]              // 000000007874: D3B140D4 1803A93C
	v_pk_mul_f32 v[214:215], v[60:61], v[214:215]              // 00000000787C: D3B140D6 1803AD3C
	v_mul_f32_dpp v60, v38, v22 row_newbcast:1 row_mask:0xf bank_mask:0xf// 000000007884: 0A782CFA FF015126
	v_mov_b32_e32 v61, v60                                     // 00000000788C: 7E7A033C
	v_pk_mul_f32 v[228:229], v[60:61], v[228:229]              // 000000007890: D3B140E4 1803C93C
	v_pk_mul_f32 v[230:231], v[60:61], v[230:231]              // 000000007898: D3B140E6 1803CD3C
	v_pk_mul_f32 v[244:245], v[60:61], v[244:245]              // 0000000078A0: D3B140F4 1803E93C
	v_pk_mul_f32 v[246:247], v[60:61], v[246:247]              // 0000000078A8: D3B140F6 1803ED3C
	v_mul_f32_dpp v60, v38, v23 row_newbcast:0 row_mask:0xf bank_mask:0xf// 0000000078B0: 0A782EFA FF015026
	v_mov_b32_e32 v61, v60                                     // 0000000078B8: 7E7A033C
	v_pk_mul_f32 v[200:201], v[60:61], v[200:201]              // 0000000078BC: D3B140C8 1803913C
	v_pk_mul_f32 v[202:203], v[60:61], v[202:203]              // 0000000078C4: D3B140CA 1803953C
	v_pk_mul_f32 v[216:217], v[60:61], v[216:217]              // 0000000078CC: D3B140D8 1803B13C
	v_pk_mul_f32 v[218:219], v[60:61], v[218:219]              // 0000000078D4: D3B140DA 1803B53C
	v_mul_f32_dpp v60, v38, v23 row_newbcast:1 row_mask:0xf bank_mask:0xf// 0000000078DC: 0A782EFA FF015126
	v_mov_b32_e32 v61, v60                                     // 0000000078E4: 7E7A033C
	v_pk_mul_f32 v[232:233], v[60:61], v[232:233]              // 0000000078E8: D3B140E8 1803D13C
	v_pk_mul_f32 v[234:235], v[60:61], v[234:235]              // 0000000078F0: D3B140EA 1803D53C
	v_pk_mul_f32 v[248:249], v[60:61], v[248:249]              // 0000000078F8: D3B140F8 1803F13C
	v_pk_mul_f32 v[250:251], v[60:61], v[250:251]              // 000000007900: D3B140FA 1803F53C
	v_mul_f32_dpp v60, v38, v24 row_newbcast:0 row_mask:0xf bank_mask:0xf// 000000007908: 0A7830FA FF015026
	v_mov_b32_e32 v61, v60                                     // 000000007910: 7E7A033C
	v_pk_mul_f32 v[204:205], v[60:61], v[204:205]              // 000000007914: D3B140CC 1803993C
	v_pk_mul_f32 v[206:207], v[60:61], v[206:207]              // 00000000791C: D3B140CE 18039D3C
	v_pk_mul_f32 v[220:221], v[60:61], v[220:221]              // 000000007924: D3B140DC 1803B93C
	v_pk_mul_f32 v[222:223], v[60:61], v[222:223]              // 00000000792C: D3B140DE 1803BD3C
	v_mul_f32_dpp v60, v38, v24 row_newbcast:1 row_mask:0xf bank_mask:0xf// 000000007934: 0A7830FA FF015126
	v_mov_b32_e32 v61, v60                                     // 00000000793C: 7E7A033C
	v_pk_mul_f32 v[236:237], v[60:61], v[236:237]              // 000000007940: D3B140EC 1803D93C
	v_pk_mul_f32 v[238:239], v[60:61], v[238:239]              // 000000007948: D3B140EE 1803DD3C
	v_pk_mul_f32 v[252:253], v[60:61], v[252:253]              // 000000007950: D3B140FC 1803F93C
	v_pk_mul_f32 v[254:255], v[60:61], v[254:255]              // 000000007958: D3B140FE 1803FD3C
	s_waitcnt vmcnt(13)                                        // 000000007960: BF8C0F7D
	v_mfma_f32_16x16x128_f8f6f4 v[128:131], a[96:103], a[136:143], 0// 000000007964: D3AD0080 1A031160
	v_mfma_f32_16x16x128_f8f6f4 v[132:135], a[96:103], a[152:159], 0// 00000000796C: D3AD0084 1A033160
	v_mfma_f32_16x16x128_f8f6f4 v[136:139], a[96:103], a[168:175], 0// 000000007974: D3AD0088 1A035160
	v_mfma_f32_16x16x128_f8f6f4 v[140:143], a[96:103], a[184:191], 0// 00000000797C: D3AD008C 1A037160
	s_waitcnt vmcnt(13)                                        // 000000007984: BF8C0F7D
	v_mfma_f32_16x16x128_f8f6f4 v[144:147], a[104:111], a[136:143], 0// 000000007988: D3AD0090 1A031168
	v_mfma_f32_16x16x128_f8f6f4 v[148:151], a[104:111], a[152:159], 0// 000000007990: D3AD0094 1A033168
	v_mfma_f32_16x16x128_f8f6f4 v[152:155], a[104:111], a[168:175], 0// 000000007998: D3AD0098 1A035168
	v_mfma_f32_16x16x128_f8f6f4 v[156:159], a[104:111], a[184:191], 0// 0000000079A0: D3AD009C 1A037168
	s_waitcnt vmcnt(13)                                        // 0000000079A8: BF8C0F7D
	v_mfma_f32_16x16x128_f8f6f4 v[160:163], a[112:119], a[136:143], 0// 0000000079AC: D3AD00A0 1A031170
	v_mfma_f32_16x16x128_f8f6f4 v[164:167], a[112:119], a[152:159], 0// 0000000079B4: D3AD00A4 1A033170
	v_mfma_f32_16x16x128_f8f6f4 v[168:171], a[112:119], a[168:175], 0// 0000000079BC: D3AD00A8 1A035170
	v_mfma_f32_16x16x128_f8f6f4 v[172:175], a[112:119], a[184:191], 0// 0000000079C4: D3AD00AC 1A037170
	s_waitcnt vmcnt(13)                                        // 0000000079CC: BF8C0F7D
	v_mfma_f32_16x16x128_f8f6f4 v[176:179], a[120:127], a[136:143], 0// 0000000079D0: D3AD00B0 1A031178
	v_mfma_f32_16x16x128_f8f6f4 v[180:183], a[120:127], a[152:159], 0// 0000000079D8: D3AD00B4 1A033178
	v_mfma_f32_16x16x128_f8f6f4 v[184:187], a[120:127], a[168:175], 0// 0000000079E0: D3AD00B8 1A035178
	v_mfma_f32_16x16x128_f8f6f4 v[188:191], a[120:127], a[184:191], 0// 0000000079E8: D3AD00BC 1A037178
	v_mul_f32_dpp v60, v38, v25 row_newbcast:2 row_mask:0xf bank_mask:0xf// 0000000079F0: 0A7832FA FF015226
	v_mov_b32_e32 v61, v60                                     // 0000000079F8: 7E7A033C
	v_pk_fma_f32 v[192:193], v[128:129], v[60:61], v[192:193]  // 0000000079FC: D3B040C0 1F027980
	v_pk_fma_f32 v[194:195], v[130:131], v[60:61], v[194:195]  // 000000007A04: D3B040C2 1F0A7982
	v_pk_fma_f32 v[208:209], v[144:145], v[60:61], v[208:209]  // 000000007A0C: D3B040D0 1F427990
	v_pk_fma_f32 v[210:211], v[146:147], v[60:61], v[210:211]  // 000000007A14: D3B040D2 1F4A7992
	v_mul_f32_dpp v60, v38, v25 row_newbcast:3 row_mask:0xf bank_mask:0xf// 000000007A1C: 0A7832FA FF015326
	v_mov_b32_e32 v61, v60                                     // 000000007A24: 7E7A033C
	v_pk_fma_f32 v[224:225], v[160:161], v[60:61], v[224:225]  // 000000007A28: D3B040E0 1F8279A0
	v_pk_fma_f32 v[226:227], v[162:163], v[60:61], v[226:227]  // 000000007A30: D3B040E2 1F8A79A2
	v_pk_fma_f32 v[240:241], v[176:177], v[60:61], v[240:241]  // 000000007A38: D3B040F0 1FC279B0
	v_pk_fma_f32 v[242:243], v[178:179], v[60:61], v[242:243]  // 000000007A40: D3B040F2 1FCA79B2
	v_mul_f32_dpp v60, v38, v26 row_newbcast:2 row_mask:0xf bank_mask:0xf// 000000007A48: 0A7834FA FF015226
	v_mov_b32_e32 v61, v60                                     // 000000007A50: 7E7A033C
	v_pk_fma_f32 v[196:197], v[132:133], v[60:61], v[196:197]  // 000000007A54: D3B040C4 1F127984
	v_pk_fma_f32 v[198:199], v[134:135], v[60:61], v[198:199]  // 000000007A5C: D3B040C6 1F1A7986
	v_pk_fma_f32 v[212:213], v[148:149], v[60:61], v[212:213]  // 000000007A64: D3B040D4 1F527994
	v_pk_fma_f32 v[214:215], v[150:151], v[60:61], v[214:215]  // 000000007A6C: D3B040D6 1F5A7996
	v_mul_f32_dpp v60, v38, v26 row_newbcast:3 row_mask:0xf bank_mask:0xf// 000000007A74: 0A7834FA FF015326
	v_mov_b32_e32 v61, v60                                     // 000000007A7C: 7E7A033C
	v_pk_fma_f32 v[228:229], v[164:165], v[60:61], v[228:229]  // 000000007A80: D3B040E4 1F9279A4
	v_pk_fma_f32 v[230:231], v[166:167], v[60:61], v[230:231]  // 000000007A88: D3B040E6 1F9A79A6
	v_pk_fma_f32 v[244:245], v[180:181], v[60:61], v[244:245]  // 000000007A90: D3B040F4 1FD279B4
	v_pk_fma_f32 v[246:247], v[182:183], v[60:61], v[246:247]  // 000000007A98: D3B040F6 1FDA79B6
	v_mul_f32_dpp v60, v38, v27 row_newbcast:2 row_mask:0xf bank_mask:0xf// 000000007AA0: 0A7836FA FF015226
	v_mov_b32_e32 v61, v60                                     // 000000007AA8: 7E7A033C
	v_pk_fma_f32 v[200:201], v[136:137], v[60:61], v[200:201]  // 000000007AAC: D3B040C8 1F227988
	v_pk_fma_f32 v[202:203], v[138:139], v[60:61], v[202:203]  // 000000007AB4: D3B040CA 1F2A798A
	v_pk_fma_f32 v[216:217], v[152:153], v[60:61], v[216:217]  // 000000007ABC: D3B040D8 1F627998
	v_pk_fma_f32 v[218:219], v[154:155], v[60:61], v[218:219]  // 000000007AC4: D3B040DA 1F6A799A
	v_mul_f32_dpp v60, v38, v27 row_newbcast:3 row_mask:0xf bank_mask:0xf// 000000007ACC: 0A7836FA FF015326
	v_mov_b32_e32 v61, v60                                     // 000000007AD4: 7E7A033C
	v_pk_fma_f32 v[232:233], v[168:169], v[60:61], v[232:233]  // 000000007AD8: D3B040E8 1FA279A8
	v_pk_fma_f32 v[234:235], v[170:171], v[60:61], v[234:235]  // 000000007AE0: D3B040EA 1FAA79AA
	v_pk_fma_f32 v[248:249], v[184:185], v[60:61], v[248:249]  // 000000007AE8: D3B040F8 1FE279B8
	v_pk_fma_f32 v[250:251], v[186:187], v[60:61], v[250:251]  // 000000007AF0: D3B040FA 1FEA79BA
	v_mul_f32_dpp v60, v38, v28 row_newbcast:2 row_mask:0xf bank_mask:0xf// 000000007AF8: 0A7838FA FF015226
	v_mov_b32_e32 v61, v60                                     // 000000007B00: 7E7A033C
	v_pk_fma_f32 v[204:205], v[140:141], v[60:61], v[204:205]  // 000000007B04: D3B040CC 1F32798C
	v_pk_fma_f32 v[206:207], v[142:143], v[60:61], v[206:207]  // 000000007B0C: D3B040CE 1F3A798E
	v_pk_fma_f32 v[220:221], v[156:157], v[60:61], v[220:221]  // 000000007B14: D3B040DC 1F72799C
	v_pk_fma_f32 v[222:223], v[158:159], v[60:61], v[222:223]  // 000000007B1C: D3B040DE 1F7A799E
	v_mul_f32_dpp v60, v38, v28 row_newbcast:3 row_mask:0xf bank_mask:0xf// 000000007B24: 0A7838FA FF015326
	v_mov_b32_e32 v61, v60                                     // 000000007B2C: 7E7A033C
	v_pk_fma_f32 v[236:237], v[172:173], v[60:61], v[236:237]  // 000000007B30: D3B040EC 1FB279AC
	v_pk_fma_f32 v[238:239], v[174:175], v[60:61], v[238:239]  // 000000007B38: D3B040EE 1FBA79AE
	v_pk_fma_f32 v[252:253], v[188:189], v[60:61], v[252:253]  // 000000007B40: D3B040FC 1FF279BC
	v_pk_fma_f32 v[254:255], v[190:191], v[60:61], v[254:255]  // 000000007B48: D3B040FE 1FFA79BE
	s_add_u32 s56, 0x200, s76                                  // 000000007B50: 80384CFF 00000200
	s_cmp_lt_u32 s56, s77                                      // 000000007B58: BF0A4D38
	s_cselect_b32 s52, s52, 0                                  // 000000007B5C: 85348034
	s_cselect_b32 s74, s74, 0                                  // 000000007B60: 854A804A
	s_cselect_b32 s75, s75, 0                                  // 000000007B64: 854B804B
	s_add_u32 s12, s52, s12                                    // 000000007B68: 800C0C34
	s_addc_u32 s13, 0, s13                                     // 000000007B6C: 820D0D80
	s_add_u32 s16, s75, s16                                    // 000000007B70: 8010104B
	s_addc_u32 s17, 0, s17                                     // 000000007B74: 82111180
	v_mov_b32_e32 v60, v39                                     // 000000007B78: 7E780327
	v_mov_b32_e32 v61, v39                                     // 000000007B7C: 7E7A0327
	v_pk_mul_f32 v[192:193], v[60:61], v[192:193]              // 000000007B80: D3B140C0 1803813C
	v_pk_mul_f32 v[194:195], v[60:61], v[194:195]              // 000000007B88: D3B140C2 1803853C
	v_pk_mul_f32 v[208:209], v[60:61], v[208:209]              // 000000007B90: D3B140D0 1803A13C
	v_pk_mul_f32 v[210:211], v[60:61], v[210:211]              // 000000007B98: D3B140D2 1803A53C
	v_pk_mul_f32 v[224:225], v[60:61], v[224:225]              // 000000007BA0: D3B140E0 1803C13C
	v_pk_mul_f32 v[226:227], v[60:61], v[226:227]              // 000000007BA8: D3B140E2 1803C53C
	v_pk_mul_f32 v[240:241], v[60:61], v[240:241]              // 000000007BB0: D3B140F0 1803E13C
	v_pk_mul_f32 v[242:243], v[60:61], v[242:243]              // 000000007BB8: D3B140F2 1803E53C
	v_mov_b32_e32 v60, v40                                     // 000000007BC0: 7E780328
	v_mov_b32_e32 v61, v40                                     // 000000007BC4: 7E7A0328
	v_pk_mul_f32 v[196:197], v[60:61], v[196:197]              // 000000007BC8: D3B140C4 1803893C
	v_pk_mul_f32 v[198:199], v[60:61], v[198:199]              // 000000007BD0: D3B140C6 18038D3C
	v_pk_mul_f32 v[212:213], v[60:61], v[212:213]              // 000000007BD8: D3B140D4 1803A93C
	v_pk_mul_f32 v[214:215], v[60:61], v[214:215]              // 000000007BE0: D3B140D6 1803AD3C
	v_pk_mul_f32 v[228:229], v[60:61], v[228:229]              // 000000007BE8: D3B140E4 1803C93C
	v_pk_mul_f32 v[230:231], v[60:61], v[230:231]              // 000000007BF0: D3B140E6 1803CD3C
	v_pk_mul_f32 v[244:245], v[60:61], v[244:245]              // 000000007BF8: D3B140F4 1803E93C
	v_pk_mul_f32 v[246:247], v[60:61], v[246:247]              // 000000007C00: D3B140F6 1803ED3C
	v_mov_b32_e32 v60, v41                                     // 000000007C08: 7E780329
	v_mov_b32_e32 v61, v41                                     // 000000007C0C: 7E7A0329
	v_pk_mul_f32 v[200:201], v[60:61], v[200:201]              // 000000007C10: D3B140C8 1803913C
	v_pk_mul_f32 v[202:203], v[60:61], v[202:203]              // 000000007C18: D3B140CA 1803953C
	v_pk_mul_f32 v[216:217], v[60:61], v[216:217]              // 000000007C20: D3B140D8 1803B13C
	v_pk_mul_f32 v[218:219], v[60:61], v[218:219]              // 000000007C28: D3B140DA 1803B53C
	v_pk_mul_f32 v[232:233], v[60:61], v[232:233]              // 000000007C30: D3B140E8 1803D13C
	v_pk_mul_f32 v[234:235], v[60:61], v[234:235]              // 000000007C38: D3B140EA 1803D53C
	v_pk_mul_f32 v[248:249], v[60:61], v[248:249]              // 000000007C40: D3B140F8 1803F13C
	v_pk_mul_f32 v[250:251], v[60:61], v[250:251]              // 000000007C48: D3B140FA 1803F53C
	v_mov_b32_e32 v60, v42                                     // 000000007C50: 7E78032A
	v_mov_b32_e32 v61, v42                                     // 000000007C54: 7E7A032A
	v_pk_mul_f32 v[204:205], v[60:61], v[204:205]              // 000000007C58: D3B140CC 1803993C
	v_pk_mul_f32 v[206:207], v[60:61], v[206:207]              // 000000007C60: D3B140CE 18039D3C
	v_pk_mul_f32 v[220:221], v[60:61], v[220:221]              // 000000007C68: D3B140DC 1803B93C
	v_pk_mul_f32 v[222:223], v[60:61], v[222:223]              // 000000007C70: D3B140DE 1803BD3C
	v_pk_mul_f32 v[236:237], v[60:61], v[236:237]              // 000000007C78: D3B140EC 1803D93C
	v_pk_mul_f32 v[238:239], v[60:61], v[238:239]              // 000000007C80: D3B140EE 1803DD3C
	v_pk_mul_f32 v[252:253], v[60:61], v[252:253]              // 000000007C88: D3B140FC 1803F93C
	v_pk_mul_f32 v[254:255], v[60:61], v[254:255]              // 000000007C90: D3B140FE 1803FD3C
	v_cvt_pk_bf16_f32 v192, v192, v193                         // 000000007C98: D26800C0 000383C0
	v_cvt_pk_bf16_f32 v193, v194, v195                         // 000000007CA0: D26800C1 000387C2
	v_cvt_pk_bf16_f32 v194, v196, v197                         // 000000007CA8: D26800C2 00038BC4
	v_cvt_pk_bf16_f32 v195, v198, v199                         // 000000007CB0: D26800C3 00038FC6
	v_cvt_pk_bf16_f32 v196, v200, v201                         // 000000007CB8: D26800C4 000393C8
	v_cvt_pk_bf16_f32 v197, v202, v203                         // 000000007CC0: D26800C5 000397CA
	v_cvt_pk_bf16_f32 v198, v204, v205                         // 000000007CC8: D26800C6 00039BCC
	v_cvt_pk_bf16_f32 v199, v206, v207                         // 000000007CD0: D26800C7 00039FCE
	v_cvt_pk_bf16_f32 v200, v208, v209                         // 000000007CD8: D26800C8 0003A3D0
	v_cvt_pk_bf16_f32 v201, v210, v211                         // 000000007CE0: D26800C9 0003A7D2
	v_cvt_pk_bf16_f32 v202, v212, v213                         // 000000007CE8: D26800CA 0003ABD4
	v_cvt_pk_bf16_f32 v203, v214, v215                         // 000000007CF0: D26800CB 0003AFD6
	v_cvt_pk_bf16_f32 v204, v216, v217                         // 000000007CF8: D26800CC 0003B3D8
	v_cvt_pk_bf16_f32 v205, v218, v219                         // 000000007D00: D26800CD 0003B7DA
	v_cvt_pk_bf16_f32 v206, v220, v221                         // 000000007D08: D26800CE 0003BBDC
	v_cvt_pk_bf16_f32 v207, v222, v223                         // 000000007D10: D26800CF 0003BFDE
	v_cvt_pk_bf16_f32 v208, v224, v225                         // 000000007D18: D26800D0 0003C3E0
	v_cvt_pk_bf16_f32 v209, v226, v227                         // 000000007D20: D26800D1 0003C7E2
	v_cvt_pk_bf16_f32 v210, v228, v229                         // 000000007D28: D26800D2 0003CBE4
	v_cvt_pk_bf16_f32 v211, v230, v231                         // 000000007D30: D26800D3 0003CFE6
	v_cvt_pk_bf16_f32 v212, v232, v233                         // 000000007D38: D26800D4 0003D3E8
	v_cvt_pk_bf16_f32 v213, v234, v235                         // 000000007D40: D26800D5 0003D7EA
	v_cvt_pk_bf16_f32 v214, v236, v237                         // 000000007D48: D26800D6 0003DBEC
	v_cvt_pk_bf16_f32 v215, v238, v239                         // 000000007D50: D26800D7 0003DFEE
	v_cvt_pk_bf16_f32 v216, v240, v241                         // 000000007D58: D26800D8 0003E3F0
	v_cvt_pk_bf16_f32 v217, v242, v243                         // 000000007D60: D26800D9 0003E7F2
	v_cvt_pk_bf16_f32 v218, v244, v245                         // 000000007D68: D26800DA 0003EBF4
	v_cvt_pk_bf16_f32 v219, v246, v247                         // 000000007D70: D26800DB 0003EFF6
	v_cvt_pk_bf16_f32 v220, v248, v249                         // 000000007D78: D26800DC 0003F3F8
	v_cvt_pk_bf16_f32 v221, v250, v251                         // 000000007D80: D26800DD 0003F7FA
	v_cvt_pk_bf16_f32 v222, v252, v253                         // 000000007D88: D26800DE 0003FBFC
	v_cvt_pk_bf16_f32 v223, v254, v255                         // 000000007D90: D26800DF 0003FFFE
	ds_write_b64 v4, v[192:193]                                // 000000007D98: D89A0000 0000C004
	ds_write_b64 v4, v[194:195] offset:8704                    // 000000007DA0: D89A2200 0000C204
	ds_write_b64 v5, v[196:197]                                // 000000007DA8: D89A0000 0000C405
	ds_write_b64 v5, v[198:199] offset:8704                    // 000000007DB0: D89A2200 0000C605
	ds_write_b64 v4, v[200:201] offset:2176                    // 000000007DB8: D89A0880 0000C804
	ds_write_b64 v4, v[202:203] offset:10880                   // 000000007DC0: D89A2A80 0000CA04
	ds_write_b64 v5, v[204:205] offset:2176                    // 000000007DC8: D89A0880 0000CC05
	ds_write_b64 v5, v[206:207] offset:10880                   // 000000007DD0: D89A2A80 0000CE05
	ds_write_b64 v4, v[208:209] offset:4352                    // 000000007DD8: D89A1100 0000D004
	ds_write_b64 v4, v[210:211] offset:13056                   // 000000007DE0: D89A3300 0000D204
	ds_write_b64 v5, v[212:213] offset:4352                    // 000000007DE8: D89A1100 0000D405
	ds_write_b64 v5, v[214:215] offset:13056                   // 000000007DF0: D89A3300 0000D605
	ds_write_b64 v4, v[216:217] offset:6528                    // 000000007DF8: D89A1980 0000D804
	ds_write_b64 v4, v[218:219] offset:15232                   // 000000007E00: D89A3B80 0000DA04
	ds_write_b64 v5, v[220:221] offset:6528                    // 000000007E08: D89A1980 0000DC05
	ds_write_b64 v5, v[222:223] offset:15232                   // 000000007E10: D89A3B80 0000DE05
	s_waitcnt lgkmcnt(0)                                       // 000000007E18: BF8CC07F
	s_barrier                                                  // 000000007E1C: BF8A0000
	ds_read_b32 v64, v6                                        // 000000007E20: D86C0000 40000006
	ds_read_b32 v65, v6 offset:4352                            // 000000007E28: D86C1100 41000006
	ds_read_b32 v66, v6 offset:8                               // 000000007E30: D86C0008 42000006
	ds_read_b32 v67, v6 offset:4360                            // 000000007E38: D86C1108 43000006
	ds_read_b32 v68, v6 offset:32                              // 000000007E40: D86C0020 44000006
	ds_read_b32 v69, v6 offset:4384                            // 000000007E48: D86C1120 45000006
	ds_read_b32 v70, v6 offset:40                              // 000000007E50: D86C0028 46000006
	ds_read_b32 v71, v6 offset:4392                            // 000000007E58: D86C1128 47000006
	ds_read_b32 v72, v6 offset:8704                            // 000000007E60: D86C2200 48000006
	ds_read_b32 v73, v6 offset:13056                           // 000000007E68: D86C3300 49000006
	ds_read_b32 v74, v6 offset:8712                            // 000000007E70: D86C2208 4A000006
	ds_read_b32 v75, v6 offset:13064                           // 000000007E78: D86C3308 4B000006
	ds_read_b32 v76, v6 offset:8736                            // 000000007E80: D86C2220 4C000006
	ds_read_b32 v77, v6 offset:13088                           // 000000007E88: D86C3320 4D000006
	ds_read_b32 v78, v6 offset:8744                            // 000000007E90: D86C2228 4E000006
	ds_read_b32 v79, v6 offset:13096                           // 000000007E98: D86C3328 4F000006
	ds_read_b32 v80, v7                                        // 000000007EA0: D86C0000 50000007
	ds_read_b32 v81, v7 offset:4352                            // 000000007EA8: D86C1100 51000007
	ds_read_b32 v82, v7 offset:8                               // 000000007EB0: D86C0008 52000007
	ds_read_b32 v83, v7 offset:4360                            // 000000007EB8: D86C1108 53000007
	ds_read_b32 v84, v7 offset:32                              // 000000007EC0: D86C0020 54000007
	ds_read_b32 v85, v7 offset:4384                            // 000000007EC8: D86C1120 55000007
	ds_read_b32 v86, v7 offset:40                              // 000000007ED0: D86C0028 56000007
	ds_read_b32 v87, v7 offset:4392                            // 000000007ED8: D86C1128 57000007
	ds_read_b32 v88, v7 offset:8704                            // 000000007EE0: D86C2200 58000007
	ds_read_b32 v89, v7 offset:13056                           // 000000007EE8: D86C3300 59000007
	ds_read_b32 v90, v7 offset:8712                            // 000000007EF0: D86C2208 5A000007
	ds_read_b32 v91, v7 offset:13064                           // 000000007EF8: D86C3308 5B000007
	ds_read_b32 v92, v7 offset:8736                            // 000000007F00: D86C2220 5C000007
	ds_read_b32 v93, v7 offset:13088                           // 000000007F08: D86C3320 5D000007
	ds_read_b32 v94, v7 offset:8744                            // 000000007F10: D86C2228 5E000007
	ds_read_b32 v95, v7 offset:13096                           // 000000007F18: D86C3328 5F000007
	s_waitcnt lgkmcnt(0)                                       // 000000007F20: BF8CC07F
	s_setvskip s20, 0                                          // 000000007F24: BF108014
	global_atomic_pk_add_bf16 v96, v64, s[8:9]                 // 000000007F28: DD488000 00084060
	s_setvskip 0, 0                                            // 000000007F30: BF108080
	s_setvskip s20, 0                                          // 000000007F34: BF108014
	global_atomic_pk_add_bf16 v96, v65, s[8:9] offset:256      // 000000007F38: DD488100 00084160
	s_setvskip 0, 0                                            // 000000007F40: BF108080
	s_setvskip s20, 1                                          // 000000007F44: BF108114
	global_atomic_pk_add_bf16 v98, v66, s[8:9]                 // 000000007F48: DD488000 00084262
	s_setvskip 0, 0                                            // 000000007F50: BF108080
	s_setvskip s20, 1                                          // 000000007F54: BF108114
	global_atomic_pk_add_bf16 v98, v67, s[8:9] offset:256      // 000000007F58: DD488100 00084362
	s_setvskip 0, 0                                            // 000000007F60: BF108080
	s_setvskip s20, 2                                          // 000000007F64: BF108214
	global_atomic_pk_add_bf16 v100, v68, s[8:9]                // 000000007F68: DD488000 00084464
	s_setvskip 0, 0                                            // 000000007F70: BF108080
	s_setvskip s20, 2                                          // 000000007F74: BF108214
	global_atomic_pk_add_bf16 v100, v69, s[8:9] offset:256     // 000000007F78: DD488100 00084564
	s_setvskip 0, 0                                            // 000000007F80: BF108080
	s_setvskip s20, 3                                          // 000000007F84: BF108314
	global_atomic_pk_add_bf16 v102, v70, s[8:9]                // 000000007F88: DD488000 00084666
	s_setvskip 0, 0                                            // 000000007F90: BF108080
	s_setvskip s20, 3                                          // 000000007F94: BF108314
	global_atomic_pk_add_bf16 v102, v71, s[8:9] offset:256     // 000000007F98: DD488100 00084766
	s_setvskip 0, 0                                            // 000000007FA0: BF108080
	s_setvskip s20, 4                                          // 000000007FA4: BF108414
	global_atomic_pk_add_bf16 v104, v72, s[8:9]                // 000000007FA8: DD488000 00084868
	s_setvskip 0, 0                                            // 000000007FB0: BF108080
	s_setvskip s20, 4                                          // 000000007FB4: BF108414
	global_atomic_pk_add_bf16 v104, v73, s[8:9] offset:256     // 000000007FB8: DD488100 00084968
	s_setvskip 0, 0                                            // 000000007FC0: BF108080
	s_setvskip s20, 5                                          // 000000007FC4: BF108514
	global_atomic_pk_add_bf16 v106, v74, s[8:9]                // 000000007FC8: DD488000 00084A6A
	s_setvskip 0, 0                                            // 000000007FD0: BF108080
	s_setvskip s20, 5                                          // 000000007FD4: BF108514
	global_atomic_pk_add_bf16 v106, v75, s[8:9] offset:256     // 000000007FD8: DD488100 00084B6A
	s_setvskip 0, 0                                            // 000000007FE0: BF108080
	s_setvskip s20, 6                                          // 000000007FE4: BF108614
	global_atomic_pk_add_bf16 v108, v76, s[8:9]                // 000000007FE8: DD488000 00084C6C
	s_setvskip 0, 0                                            // 000000007FF0: BF108080
	s_setvskip s20, 6                                          // 000000007FF4: BF108614
	global_atomic_pk_add_bf16 v108, v77, s[8:9] offset:256     // 000000007FF8: DD488100 00084D6C
	s_setvskip 0, 0                                            // 000000008000: BF108080
	s_setvskip s20, 7                                          // 000000008004: BF108714
	global_atomic_pk_add_bf16 v110, v78, s[8:9]                // 000000008008: DD488000 00084E6E
	s_setvskip 0, 0                                            // 000000008010: BF108080
	s_setvskip s20, 7                                          // 000000008014: BF108714
	global_atomic_pk_add_bf16 v110, v79, s[8:9] offset:256     // 000000008018: DD488100 00084F6E
	s_setvskip 0, 0                                            // 000000008020: BF108080
	s_setvskip s20, 8                                          // 000000008024: BF108814
	global_atomic_pk_add_bf16 v112, v80, s[8:9]                // 000000008028: DD488000 00085070
	s_setvskip 0, 0                                            // 000000008030: BF108080
	s_setvskip s20, 8                                          // 000000008034: BF108814
	global_atomic_pk_add_bf16 v112, v81, s[8:9] offset:256     // 000000008038: DD488100 00085170
	s_setvskip 0, 0                                            // 000000008040: BF108080
	s_setvskip s20, 9                                          // 000000008044: BF108914
	global_atomic_pk_add_bf16 v114, v82, s[8:9]                // 000000008048: DD488000 00085272
	s_setvskip 0, 0                                            // 000000008050: BF108080
	s_setvskip s20, 9                                          // 000000008054: BF108914
	global_atomic_pk_add_bf16 v114, v83, s[8:9] offset:256     // 000000008058: DD488100 00085372
	s_setvskip 0, 0                                            // 000000008060: BF108080
	s_setvskip s20, 10                                         // 000000008064: BF108A14
	global_atomic_pk_add_bf16 v116, v84, s[8:9]                // 000000008068: DD488000 00085474
	s_setvskip 0, 0                                            // 000000008070: BF108080
	s_setvskip s20, 10                                         // 000000008074: BF108A14
	global_atomic_pk_add_bf16 v116, v85, s[8:9] offset:256     // 000000008078: DD488100 00085574
	s_setvskip 0, 0                                            // 000000008080: BF108080
	s_setvskip s20, 11                                         // 000000008084: BF108B14
	global_atomic_pk_add_bf16 v118, v86, s[8:9]                // 000000008088: DD488000 00085676
	s_setvskip 0, 0                                            // 000000008090: BF108080
	s_setvskip s20, 11                                         // 000000008094: BF108B14
	global_atomic_pk_add_bf16 v118, v87, s[8:9] offset:256     // 000000008098: DD488100 00085776
	s_setvskip 0, 0                                            // 0000000080A0: BF108080
	s_setvskip s20, 12                                         // 0000000080A4: BF108C14
	global_atomic_pk_add_bf16 v120, v88, s[8:9]                // 0000000080A8: DD488000 00085878
	s_setvskip 0, 0                                            // 0000000080B0: BF108080
	s_setvskip s20, 12                                         // 0000000080B4: BF108C14
	global_atomic_pk_add_bf16 v120, v89, s[8:9] offset:256     // 0000000080B8: DD488100 00085978
	s_setvskip 0, 0                                            // 0000000080C0: BF108080
	s_setvskip s20, 13                                         // 0000000080C4: BF108D14
	global_atomic_pk_add_bf16 v122, v90, s[8:9]                // 0000000080C8: DD488000 00085A7A
	s_setvskip 0, 0                                            // 0000000080D0: BF108080
	s_setvskip s20, 13                                         // 0000000080D4: BF108D14
	global_atomic_pk_add_bf16 v122, v91, s[8:9] offset:256     // 0000000080D8: DD488100 00085B7A
	s_setvskip 0, 0                                            // 0000000080E0: BF108080
	s_setvskip s20, 14                                         // 0000000080E4: BF108E14
	global_atomic_pk_add_bf16 v124, v92, s[8:9]                // 0000000080E8: DD488000 00085C7C
	s_setvskip 0, 0                                            // 0000000080F0: BF108080
	s_setvskip s20, 14                                         // 0000000080F4: BF108E14
	global_atomic_pk_add_bf16 v124, v93, s[8:9] offset:256     // 0000000080F8: DD488100 00085D7C
	s_setvskip 0, 0                                            // 000000008100: BF108080
	s_setvskip s20, 15                                         // 000000008104: BF108F14
	global_atomic_pk_add_bf16 v126, v94, s[8:9]                // 000000008108: DD488000 00085E7E
	s_setvskip 0, 0                                            // 000000008110: BF108080
	s_setvskip s20, 15                                         // 000000008114: BF108F14
	global_atomic_pk_add_bf16 v126, v95, s[8:9] offset:256     // 000000008118: DD488100 00085F7E
	s_setvskip 0, 0                                            // 000000008120: BF108080
	s_add_u32 s8, s55, s8                                      // 000000008124: 80080837
	s_addc_u32 s9, 0, s9                                       // 000000008128: 82090980
	s_addk_i32 s76, 0x100                                      // 00000000812C: B74C0100
	s_cmp_lt_i32 s76, s77                                      // 000000008130: BF044D4C
	s_cbranch_scc0 label_14CF                                  // 000000008134: BF840001
	s_branch label_0FA0                                        // 000000008138: BF82FAD1

000000000000813c <label_14CF>:
	s_nop 0                                                    // 00000000813C: BF800000
	s_nop 0                                                    // 000000008140: BF800000
	s_branch label_2514                                        // 000000008144: BF821042

0000000000008148 <label_14D2>:
	s_waitcnt vmcnt(12) lgkmcnt(0)                             // 000000008148: BF8C007C
	s_barrier                                                  // 00000000814C: BF8A0000
	v_mfma_f32_16x16x128_f8f6f4 v[192:195], a[0:7], a[128:135], 0// 000000008150: D3AD00C0 1A030100
	buffer_load_dwordx4 v43, s[20:23], 0 offen lds             // 000000008158: E05D1000 8005002B
	s_add_u32 m0, 0x1080, s49                                  // 000000008160: 807C31FF 00001080
	buffer_load_dwordx4 v44, s[20:23], 0 offen lds             // 000000008168: E05D1000 8005002C
	s_add_u32 m0, 0, s51                                       // 000000008170: 807C3380
	buffer_load_dwordx4 v45, s[20:23], 0 offen lds             // 000000008174: E05D1000 8005002D
	s_add_u32 m0, 0x1080, s51                                  // 00000000817C: 807C33FF 00001080
	buffer_load_dwordx4 v46, s[20:23], 0 offen lds             // 000000008184: E05D1000 8005002E
	s_add_u32 m0, 0x1080, s49                                  // 00000000818C: 807C31FF 00001080
	s_add_u32 m0, m0, s72                                      // 000000008194: 807C487C
	buffer_load_dword v9, s[28:31], 0 offen lds                // 000000008198: E0511000 80070009
	s_add_u32 m0, m0, 0x4a00                                   // 0000000081A0: 807CFF7C 00004A00
	buffer_load_dword v11, s[28:31], 0 offen lds               // 0000000081A8: E0511000 8007000B
	s_add_u32 m0, 0, s48                                       // 0000000081B0: 807C3080
	buffer_load_dword v38, v19, s[32:35], 0 offen              // 0000000081B4: E0501000 80082613
	buffer_load_dwordx4 a[64:67], v47, s[96:99], 0 offen       // 0000000081BC: E05C1000 8098402F
	buffer_load_dwordx4 a[68:71], v47, s[96:99], 0 offen offset:1024// 0000000081C4: E05C1400 8098442F
	v_mfma_f32_16x16x128_f8f6f4 v[196:199], a[0:7], a[144:151], 0// 0000000081CC: D3AD00C4 1A032100
	v_mfma_f32_16x16x128_f8f6f4 v[200:203], a[0:7], a[160:167], 0// 0000000081D4: D3AD00C8 1A034100
	buffer_load_dwordx4 a[72:75], v48, s[96:99], 0 offen       // 0000000081DC: E05C1000 80984830
	buffer_load_dwordx4 a[76:79], v48, s[96:99], 0 offen offset:1024// 0000000081E4: E05C1400 80984C30
	v_mfma_f32_16x16x128_f8f6f4 v[204:207], a[0:7], a[176:183], 0// 0000000081EC: D3AD00CC 1A036100
	v_mfma_f32_16x16x128_f8f6f4 v[208:211], a[8:15], a[128:135], 0// 0000000081F4: D3AD00D0 1A030108
	buffer_load_dwordx4 a[80:83], v49, s[96:99], 0 offen       // 0000000081FC: E05C1000 80985031
	buffer_load_dwordx4 a[84:87], v49, s[96:99], 0 offen offset:1024// 000000008204: E05C1400 80985431
	v_mfma_f32_16x16x128_f8f6f4 v[212:215], a[8:15], a[144:151], 0// 00000000820C: D3AD00D4 1A032108
	v_mfma_f32_16x16x128_f8f6f4 v[216:219], a[8:15], a[160:167], 0// 000000008214: D3AD00D8 1A034108
	buffer_load_dwordx4 a[88:91], v50, s[96:99], 0 offen       // 00000000821C: E05C1000 80985832
	buffer_load_dwordx4 a[92:95], v50, s[96:99], 0 offen offset:1024// 000000008224: E05C1400 80985C32
	v_mfma_f32_16x16x128_f8f6f4 v[220:223], a[8:15], a[176:183], 0// 00000000822C: D3AD00DC 1A036108
	s_waitcnt vmcnt(23)                                        // 000000008234: BF8C4F77
	v_mfma_f32_16x16x128_f8f6f4 v[224:227], a[16:23], a[128:135], 0// 000000008238: D3AD00E0 1A030110
	buffer_load_dwordx4 a[96:99], v47, s[96:99], 0 offen offset:2048// 000000008240: E05C1800 8098602F
	buffer_load_dwordx4 a[100:103], v47, s[96:99], 0 offen offset:3072// 000000008248: E05C1C00 8098642F
	v_mfma_f32_16x16x128_f8f6f4 v[228:231], a[16:23], a[144:151], 0// 000000008250: D3AD00E4 1A032110
	v_mfma_f32_16x16x128_f8f6f4 v[232:235], a[16:23], a[160:167], 0// 000000008258: D3AD00E8 1A034110
	buffer_load_dwordx4 a[104:107], v48, s[96:99], 0 offen offset:2048// 000000008260: E05C1800 80986830
	buffer_load_dwordx4 a[108:111], v48, s[96:99], 0 offen offset:3072// 000000008268: E05C1C00 80986C30
	v_mfma_f32_16x16x128_f8f6f4 v[236:239], a[16:23], a[176:183], 0// 000000008270: D3AD00EC 1A036110
	v_mfma_f32_16x16x128_f8f6f4 v[240:243], a[24:31], a[128:135], 0// 000000008278: D3AD00F0 1A030118
	buffer_load_dwordx4 a[112:115], v49, s[96:99], 0 offen offset:2048// 000000008280: E05C1800 80987031
	buffer_load_dwordx4 a[116:119], v49, s[96:99], 0 offen offset:3072// 000000008288: E05C1C00 80987431
	v_mfma_f32_16x16x128_f8f6f4 v[244:247], a[24:31], a[144:151], 0// 000000008290: D3AD00F4 1A032118
	v_mfma_f32_16x16x128_f8f6f4 v[248:251], a[24:31], a[160:167], 0// 000000008298: D3AD00F8 1A034118
	buffer_load_dwordx4 a[120:123], v50, s[96:99], 0 offen offset:2048// 0000000082A0: E05C1800 80987832
	buffer_load_dwordx4 a[124:127], v50, s[96:99], 0 offen offset:3072// 0000000082A8: E05C1C00 80987C32
	v_mfma_f32_16x16x128_f8f6f4 v[252:255], a[24:31], a[176:183], 0// 0000000082B0: D3AD00FC 1A036118
	v_mul_f32_dpp v60, v37, v21 row_newbcast:0 row_mask:0xf bank_mask:0xf// 0000000082B8: 0A782AFA FF015025
	v_mov_b32_e32 v61, v60                                     // 0000000082C0: 7E7A033C
	v_pk_fma_f32 v[64:65], v[192:193], v[60:61], v[64:65]      // 0000000082C4: D3B04040 1D0279C0
	v_pk_fma_f32 v[66:67], v[194:195], v[60:61], v[66:67]      // 0000000082CC: D3B04042 1D0A79C2
	v_pk_fma_f32 v[80:81], v[208:209], v[60:61], v[80:81]      // 0000000082D4: D3B04050 1D4279D0
	v_pk_fma_f32 v[82:83], v[210:211], v[60:61], v[82:83]      // 0000000082DC: D3B04052 1D4A79D2
	v_mul_f32_dpp v60, v37, v21 row_newbcast:1 row_mask:0xf bank_mask:0xf// 0000000082E4: 0A782AFA FF015125
	v_mov_b32_e32 v61, v60                                     // 0000000082EC: 7E7A033C
	v_pk_fma_f32 v[96:97], v[224:225], v[60:61], v[96:97]      // 0000000082F0: D3B04060 1D8279E0
	v_pk_fma_f32 v[98:99], v[226:227], v[60:61], v[98:99]      // 0000000082F8: D3B04062 1D8A79E2
	v_pk_fma_f32 v[112:113], v[240:241], v[60:61], v[112:113]  // 000000008300: D3B04070 1DC279F0
	v_pk_fma_f32 v[114:115], v[242:243], v[60:61], v[114:115]  // 000000008308: D3B04072 1DCA79F2
	v_mul_f32_dpp v60, v37, v22 row_newbcast:0 row_mask:0xf bank_mask:0xf// 000000008310: 0A782CFA FF015025
	v_mov_b32_e32 v61, v60                                     // 000000008318: 7E7A033C
	v_pk_fma_f32 v[68:69], v[196:197], v[60:61], v[68:69]      // 00000000831C: D3B04044 1D1279C4
	v_pk_fma_f32 v[70:71], v[198:199], v[60:61], v[70:71]      // 000000008324: D3B04046 1D1A79C6
	v_pk_fma_f32 v[84:85], v[212:213], v[60:61], v[84:85]      // 00000000832C: D3B04054 1D5279D4
	v_pk_fma_f32 v[86:87], v[214:215], v[60:61], v[86:87]      // 000000008334: D3B04056 1D5A79D6
	v_mul_f32_dpp v60, v37, v22 row_newbcast:1 row_mask:0xf bank_mask:0xf// 00000000833C: 0A782CFA FF015125
	v_mov_b32_e32 v61, v60                                     // 000000008344: 7E7A033C
	v_pk_fma_f32 v[100:101], v[228:229], v[60:61], v[100:101]  // 000000008348: D3B04064 1D9279E4
	v_pk_fma_f32 v[102:103], v[230:231], v[60:61], v[102:103]  // 000000008350: D3B04066 1D9A79E6
	v_pk_fma_f32 v[116:117], v[244:245], v[60:61], v[116:117]  // 000000008358: D3B04074 1DD279F4
	v_pk_fma_f32 v[118:119], v[246:247], v[60:61], v[118:119]  // 000000008360: D3B04076 1DDA79F6
	v_mul_f32_dpp v60, v37, v23 row_newbcast:0 row_mask:0xf bank_mask:0xf// 000000008368: 0A782EFA FF015025
	v_mov_b32_e32 v61, v60                                     // 000000008370: 7E7A033C
	v_pk_fma_f32 v[72:73], v[200:201], v[60:61], v[72:73]      // 000000008374: D3B04048 1D2279C8
	v_pk_fma_f32 v[74:75], v[202:203], v[60:61], v[74:75]      // 00000000837C: D3B0404A 1D2A79CA
	v_pk_fma_f32 v[88:89], v[216:217], v[60:61], v[88:89]      // 000000008384: D3B04058 1D6279D8
	v_pk_fma_f32 v[90:91], v[218:219], v[60:61], v[90:91]      // 00000000838C: D3B0405A 1D6A79DA
	v_mul_f32_dpp v60, v37, v23 row_newbcast:1 row_mask:0xf bank_mask:0xf// 000000008394: 0A782EFA FF015125
	v_mov_b32_e32 v61, v60                                     // 00000000839C: 7E7A033C
	v_pk_fma_f32 v[104:105], v[232:233], v[60:61], v[104:105]  // 0000000083A0: D3B04068 1DA279E8
	v_pk_fma_f32 v[106:107], v[234:235], v[60:61], v[106:107]  // 0000000083A8: D3B0406A 1DAA79EA
	v_pk_fma_f32 v[120:121], v[248:249], v[60:61], v[120:121]  // 0000000083B0: D3B04078 1DE279F8
	v_pk_fma_f32 v[122:123], v[250:251], v[60:61], v[122:123]  // 0000000083B8: D3B0407A 1DEA79FA
	v_mul_f32_dpp v60, v37, v24 row_newbcast:0 row_mask:0xf bank_mask:0xf// 0000000083C0: 0A7830FA FF015025
	v_mov_b32_e32 v61, v60                                     // 0000000083C8: 7E7A033C
	v_pk_fma_f32 v[76:77], v[204:205], v[60:61], v[76:77]      // 0000000083CC: D3B0404C 1D3279CC
	v_pk_fma_f32 v[78:79], v[206:207], v[60:61], v[78:79]      // 0000000083D4: D3B0404E 1D3A79CE
	v_pk_fma_f32 v[92:93], v[220:221], v[60:61], v[92:93]      // 0000000083DC: D3B0405C 1D7279DC
	v_pk_fma_f32 v[94:95], v[222:223], v[60:61], v[94:95]      // 0000000083E4: D3B0405E 1D7A79DE
	v_mul_f32_dpp v60, v37, v24 row_newbcast:1 row_mask:0xf bank_mask:0xf// 0000000083EC: 0A7830FA FF015125
	v_mov_b32_e32 v61, v60                                     // 0000000083F4: 7E7A033C
	v_pk_fma_f32 v[108:109], v[236:237], v[60:61], v[108:109]  // 0000000083F8: D3B0406C 1DB279EC
	v_pk_fma_f32 v[110:111], v[238:239], v[60:61], v[110:111]  // 000000008400: D3B0406E 1DBA79EE
	v_pk_fma_f32 v[124:125], v[252:253], v[60:61], v[124:125]  // 000000008408: D3B0407C 1DF279FC
	v_pk_fma_f32 v[126:127], v[254:255], v[60:61], v[126:127]  // 000000008410: D3B0407E 1DFA79FE
	s_waitcnt vmcnt(27)                                        // 000000008418: BF8C4F7B
	v_mfma_f32_16x16x128_f8f6f4 v[192:195], a[32:39], a[136:143], 0// 00000000841C: D3AD00C0 1A031120
	v_mfma_f32_16x16x128_f8f6f4 v[196:199], a[32:39], a[152:159], 0// 000000008424: D3AD00C4 1A033120
	v_mfma_f32_16x16x128_f8f6f4 v[200:203], a[32:39], a[168:175], 0// 00000000842C: D3AD00C8 1A035120
	v_mfma_f32_16x16x128_f8f6f4 v[204:207], a[32:39], a[184:191], 0// 000000008434: D3AD00CC 1A037120
	v_mfma_f32_16x16x128_f8f6f4 v[208:211], a[40:47], a[136:143], 0// 00000000843C: D3AD00D0 1A031128
	v_mfma_f32_16x16x128_f8f6f4 v[212:215], a[40:47], a[152:159], 0// 000000008444: D3AD00D4 1A033128
	v_mfma_f32_16x16x128_f8f6f4 v[216:219], a[40:47], a[168:175], 0// 00000000844C: D3AD00D8 1A035128
	v_mfma_f32_16x16x128_f8f6f4 v[220:223], a[40:47], a[184:191], 0// 000000008454: D3AD00DC 1A037128
	s_waitcnt vmcnt(23)                                        // 00000000845C: BF8C4F77
	v_mfma_f32_16x16x128_f8f6f4 v[224:227], a[48:55], a[136:143], 0// 000000008460: D3AD00E0 1A031130
	v_mfma_f32_16x16x128_f8f6f4 v[228:231], a[48:55], a[152:159], 0// 000000008468: D3AD00E4 1A033130
	v_mfma_f32_16x16x128_f8f6f4 v[232:235], a[48:55], a[168:175], 0// 000000008470: D3AD00E8 1A035130
	v_mfma_f32_16x16x128_f8f6f4 v[236:239], a[48:55], a[184:191], 0// 000000008478: D3AD00EC 1A037130
	v_mfma_f32_16x16x128_f8f6f4 v[240:243], a[56:63], a[136:143], 0// 000000008480: D3AD00F0 1A031138
	v_mfma_f32_16x16x128_f8f6f4 v[244:247], a[56:63], a[152:159], 0// 000000008488: D3AD00F4 1A033138
	v_mfma_f32_16x16x128_f8f6f4 v[248:251], a[56:63], a[168:175], 0// 000000008490: D3AD00F8 1A035138
	v_mfma_f32_16x16x128_f8f6f4 v[252:255], a[56:63], a[184:191], 0// 000000008498: D3AD00FC 1A037138
	v_mul_f32_dpp v60, v37, v25 row_newbcast:2 row_mask:0xf bank_mask:0xf// 0000000084A0: 0A7832FA FF015225
	v_mov_b32_e32 v61, v60                                     // 0000000084A8: 7E7A033C
	v_pk_fma_f32 v[64:65], v[192:193], v[60:61], v[64:65]      // 0000000084AC: D3B04040 1D0279C0
	v_pk_fma_f32 v[66:67], v[194:195], v[60:61], v[66:67]      // 0000000084B4: D3B04042 1D0A79C2
	v_pk_fma_f32 v[80:81], v[208:209], v[60:61], v[80:81]      // 0000000084BC: D3B04050 1D4279D0
	v_pk_fma_f32 v[82:83], v[210:211], v[60:61], v[82:83]      // 0000000084C4: D3B04052 1D4A79D2
	v_mul_f32_dpp v60, v37, v25 row_newbcast:3 row_mask:0xf bank_mask:0xf// 0000000084CC: 0A7832FA FF015325
	v_mov_b32_e32 v61, v60                                     // 0000000084D4: 7E7A033C
	v_pk_fma_f32 v[96:97], v[224:225], v[60:61], v[96:97]      // 0000000084D8: D3B04060 1D8279E0
	v_pk_fma_f32 v[98:99], v[226:227], v[60:61], v[98:99]      // 0000000084E0: D3B04062 1D8A79E2
	v_pk_fma_f32 v[112:113], v[240:241], v[60:61], v[112:113]  // 0000000084E8: D3B04070 1DC279F0
	v_pk_fma_f32 v[114:115], v[242:243], v[60:61], v[114:115]  // 0000000084F0: D3B04072 1DCA79F2
	v_mul_f32_dpp v60, v37, v26 row_newbcast:2 row_mask:0xf bank_mask:0xf// 0000000084F8: 0A7834FA FF015225
	v_mov_b32_e32 v61, v60                                     // 000000008500: 7E7A033C
	v_pk_fma_f32 v[68:69], v[196:197], v[60:61], v[68:69]      // 000000008504: D3B04044 1D1279C4
	v_pk_fma_f32 v[70:71], v[198:199], v[60:61], v[70:71]      // 00000000850C: D3B04046 1D1A79C6
	v_pk_fma_f32 v[84:85], v[212:213], v[60:61], v[84:85]      // 000000008514: D3B04054 1D5279D4
	v_pk_fma_f32 v[86:87], v[214:215], v[60:61], v[86:87]      // 00000000851C: D3B04056 1D5A79D6
	v_mul_f32_dpp v60, v37, v26 row_newbcast:3 row_mask:0xf bank_mask:0xf// 000000008524: 0A7834FA FF015325
	v_mov_b32_e32 v61, v60                                     // 00000000852C: 7E7A033C
	v_pk_fma_f32 v[100:101], v[228:229], v[60:61], v[100:101]  // 000000008530: D3B04064 1D9279E4
	v_pk_fma_f32 v[102:103], v[230:231], v[60:61], v[102:103]  // 000000008538: D3B04066 1D9A79E6
	v_pk_fma_f32 v[116:117], v[244:245], v[60:61], v[116:117]  // 000000008540: D3B04074 1DD279F4
	v_pk_fma_f32 v[118:119], v[246:247], v[60:61], v[118:119]  // 000000008548: D3B04076 1DDA79F6
	v_mul_f32_dpp v60, v37, v27 row_newbcast:2 row_mask:0xf bank_mask:0xf// 000000008550: 0A7836FA FF015225
	v_mov_b32_e32 v61, v60                                     // 000000008558: 7E7A033C
	v_pk_fma_f32 v[72:73], v[200:201], v[60:61], v[72:73]      // 00000000855C: D3B04048 1D2279C8
	v_pk_fma_f32 v[74:75], v[202:203], v[60:61], v[74:75]      // 000000008564: D3B0404A 1D2A79CA
	v_pk_fma_f32 v[88:89], v[216:217], v[60:61], v[88:89]      // 00000000856C: D3B04058 1D6279D8
	v_pk_fma_f32 v[90:91], v[218:219], v[60:61], v[90:91]      // 000000008574: D3B0405A 1D6A79DA
	v_mul_f32_dpp v60, v37, v27 row_newbcast:3 row_mask:0xf bank_mask:0xf// 00000000857C: 0A7836FA FF015325
	v_mov_b32_e32 v61, v60                                     // 000000008584: 7E7A033C
	v_pk_fma_f32 v[104:105], v[232:233], v[60:61], v[104:105]  // 000000008588: D3B04068 1DA279E8
	v_pk_fma_f32 v[106:107], v[234:235], v[60:61], v[106:107]  // 000000008590: D3B0406A 1DAA79EA
	v_pk_fma_f32 v[120:121], v[248:249], v[60:61], v[120:121]  // 000000008598: D3B04078 1DE279F8
	v_pk_fma_f32 v[122:123], v[250:251], v[60:61], v[122:123]  // 0000000085A0: D3B0407A 1DEA79FA
	v_mul_f32_dpp v60, v37, v28 row_newbcast:2 row_mask:0xf bank_mask:0xf// 0000000085A8: 0A7838FA FF015225
	v_mov_b32_e32 v61, v60                                     // 0000000085B0: 7E7A033C
	v_pk_fma_f32 v[76:77], v[204:205], v[60:61], v[76:77]      // 0000000085B4: D3B0404C 1D3279CC
	v_pk_fma_f32 v[78:79], v[206:207], v[60:61], v[78:79]      // 0000000085BC: D3B0404E 1D3A79CE
	v_pk_fma_f32 v[92:93], v[220:221], v[60:61], v[92:93]      // 0000000085C4: D3B0405C 1D7279DC
	v_pk_fma_f32 v[94:95], v[222:223], v[60:61], v[94:95]      // 0000000085CC: D3B0405E 1D7A79DE
	v_mul_f32_dpp v60, v37, v28 row_newbcast:3 row_mask:0xf bank_mask:0xf// 0000000085D4: 0A7838FA FF015325
	v_mov_b32_e32 v61, v60                                     // 0000000085DC: 7E7A033C
	v_pk_fma_f32 v[108:109], v[236:237], v[60:61], v[108:109]  // 0000000085E0: D3B0406C 1DB279EC
	v_pk_fma_f32 v[110:111], v[238:239], v[60:61], v[110:111]  // 0000000085E8: D3B0406E 1DBA79EE
	v_pk_fma_f32 v[124:125], v[252:253], v[60:61], v[124:125]  // 0000000085F0: D3B0407C 1DF279FC
	v_pk_fma_f32 v[126:127], v[254:255], v[60:61], v[126:127]  // 0000000085F8: D3B0407E 1DFA79FE
	s_add_u32 s56, 0x100, s76                                  // 000000008600: 80384CFF 00000100
	s_cmp_lt_u32 s56, s77                                      // 000000008608: BF0A4D38
	s_cselect_b32 s4, s4, 0                                    // 00000000860C: 85048004
	s_add_u32 s32, s4, s32                                     // 000000008610: 80202004
	s_addc_u32 s33, 0, s33                                     // 000000008614: 82212180
	s_waitcnt vmcnt(12)                                        // 000000008618: BF8C0F7C
	s_barrier                                                  // 00000000861C: BF8A0000
	v_mfma_f32_16x16x128_f8f6f4 v[192:195], a[64:71], a[128:135], 0// 000000008620: D3AD00C0 1A030140
	buffer_load_dword v37, v17, s[32:35], 0 offen              // 000000008628: E0501000 80082511
	buffer_load_dwordx4 a[0:3], v47, s[24:27], 0 offen         // 000000008630: E05C1000 8086002F
	buffer_load_dwordx4 a[4:7], v47, s[24:27], 0 offen offset:1024// 000000008638: E05C1400 8086042F
	v_mfma_f32_16x16x128_f8f6f4 v[196:199], a[64:71], a[144:151], 0// 000000008640: D3AD00C4 1A032140
	v_mfma_f32_16x16x128_f8f6f4 v[200:203], a[64:71], a[160:167], 0// 000000008648: D3AD00C8 1A034140
	buffer_load_dwordx4 a[8:11], v48, s[24:27], 0 offen        // 000000008650: E05C1000 80860830
	buffer_load_dwordx4 a[12:15], v48, s[24:27], 0 offen offset:1024// 000000008658: E05C1400 80860C30
	v_mfma_f32_16x16x128_f8f6f4 v[204:207], a[64:71], a[176:183], 0// 000000008660: D3AD00CC 1A036140
	v_mfma_f32_16x16x128_f8f6f4 v[208:211], a[72:79], a[128:135], 0// 000000008668: D3AD00D0 1A030148
	buffer_load_dwordx4 a[16:19], v49, s[24:27], 0 offen       // 000000008670: E05C1000 80861031
	buffer_load_dwordx4 a[20:23], v49, s[24:27], 0 offen offset:1024// 000000008678: E05C1400 80861431
	v_mfma_f32_16x16x128_f8f6f4 v[212:215], a[72:79], a[144:151], 0// 000000008680: D3AD00D4 1A032148
	v_mfma_f32_16x16x128_f8f6f4 v[216:219], a[72:79], a[160:167], 0// 000000008688: D3AD00D8 1A034148
	buffer_load_dwordx4 a[24:27], v50, s[24:27], 0 offen       // 000000008690: E05C1000 80861832
	buffer_load_dwordx4 a[28:31], v50, s[24:27], 0 offen offset:1024// 000000008698: E05C1400 80861C32
	v_mfma_f32_16x16x128_f8f6f4 v[220:223], a[72:79], a[176:183], 0// 0000000086A0: D3AD00DC 1A036148
	s_waitcnt vmcnt(17)                                        // 0000000086A8: BF8C4F71
	v_mfma_f32_16x16x128_f8f6f4 v[224:227], a[80:87], a[128:135], 0// 0000000086AC: D3AD00E0 1A030150
	buffer_load_dwordx4 a[32:35], v47, s[24:27], 0 offen offset:2048// 0000000086B4: E05C1800 8086202F
	buffer_load_dwordx4 a[36:39], v47, s[24:27], 0 offen offset:3072// 0000000086BC: E05C1C00 8086242F
	v_mfma_f32_16x16x128_f8f6f4 v[228:231], a[80:87], a[144:151], 0// 0000000086C4: D3AD00E4 1A032150
	v_mfma_f32_16x16x128_f8f6f4 v[232:235], a[80:87], a[160:167], 0// 0000000086CC: D3AD00E8 1A034150
	buffer_load_dwordx4 a[40:43], v48, s[24:27], 0 offen offset:2048// 0000000086D4: E05C1800 80862830
	buffer_load_dwordx4 a[44:47], v48, s[24:27], 0 offen offset:3072// 0000000086DC: E05C1C00 80862C30
	v_mfma_f32_16x16x128_f8f6f4 v[236:239], a[80:87], a[176:183], 0// 0000000086E4: D3AD00EC 1A036150
	v_mfma_f32_16x16x128_f8f6f4 v[240:243], a[88:95], a[128:135], 0// 0000000086EC: D3AD00F0 1A030158
	buffer_load_dwordx4 a[48:51], v49, s[24:27], 0 offen offset:2048// 0000000086F4: E05C1800 80863031
	buffer_load_dwordx4 a[52:55], v49, s[24:27], 0 offen offset:3072// 0000000086FC: E05C1C00 80863431
	v_mfma_f32_16x16x128_f8f6f4 v[244:247], a[88:95], a[144:151], 0// 000000008704: D3AD00F4 1A032158
	v_mfma_f32_16x16x128_f8f6f4 v[248:251], a[88:95], a[160:167], 0// 00000000870C: D3AD00F8 1A034158
	buffer_load_dwordx4 a[56:59], v50, s[24:27], 0 offen offset:2048// 000000008714: E05C1800 80863832
	buffer_load_dwordx4 a[60:63], v50, s[24:27], 0 offen offset:3072// 00000000871C: E05C1C00 80863C32
	v_mfma_f32_16x16x128_f8f6f4 v[252:255], a[88:95], a[176:183], 0// 000000008724: D3AD00FC 1A036158
	v_mul_f32_dpp v60, v38, v21 row_newbcast:0 row_mask:0xf bank_mask:0xf// 00000000872C: 0A782AFA FF015026
	v_mov_b32_e32 v61, v60                                     // 000000008734: 7E7A033C
	v_pk_fma_f32 v[128:129], v[192:193], v[60:61], v[128:129]  // 000000008738: D3B04080 1E0279C0
	v_pk_fma_f32 v[130:131], v[194:195], v[60:61], v[130:131]  // 000000008740: D3B04082 1E0A79C2
	v_pk_fma_f32 v[144:145], v[208:209], v[60:61], v[144:145]  // 000000008748: D3B04090 1E4279D0
	v_pk_fma_f32 v[146:147], v[210:211], v[60:61], v[146:147]  // 000000008750: D3B04092 1E4A79D2
	v_mul_f32_dpp v60, v38, v21 row_newbcast:1 row_mask:0xf bank_mask:0xf// 000000008758: 0A782AFA FF015126
	v_mov_b32_e32 v61, v60                                     // 000000008760: 7E7A033C
	v_pk_fma_f32 v[160:161], v[224:225], v[60:61], v[160:161]  // 000000008764: D3B040A0 1E8279E0
	v_pk_fma_f32 v[162:163], v[226:227], v[60:61], v[162:163]  // 00000000876C: D3B040A2 1E8A79E2
	v_pk_fma_f32 v[176:177], v[240:241], v[60:61], v[176:177]  // 000000008774: D3B040B0 1EC279F0
	v_pk_fma_f32 v[178:179], v[242:243], v[60:61], v[178:179]  // 00000000877C: D3B040B2 1ECA79F2
	v_mul_f32_dpp v60, v38, v22 row_newbcast:0 row_mask:0xf bank_mask:0xf// 000000008784: 0A782CFA FF015026
	v_mov_b32_e32 v61, v60                                     // 00000000878C: 7E7A033C
	v_pk_fma_f32 v[132:133], v[196:197], v[60:61], v[132:133]  // 000000008790: D3B04084 1E1279C4
	v_pk_fma_f32 v[134:135], v[198:199], v[60:61], v[134:135]  // 000000008798: D3B04086 1E1A79C6
	v_pk_fma_f32 v[148:149], v[212:213], v[60:61], v[148:149]  // 0000000087A0: D3B04094 1E5279D4
	v_pk_fma_f32 v[150:151], v[214:215], v[60:61], v[150:151]  // 0000000087A8: D3B04096 1E5A79D6
	v_mul_f32_dpp v60, v38, v22 row_newbcast:1 row_mask:0xf bank_mask:0xf// 0000000087B0: 0A782CFA FF015126
	v_mov_b32_e32 v61, v60                                     // 0000000087B8: 7E7A033C
	v_pk_fma_f32 v[164:165], v[228:229], v[60:61], v[164:165]  // 0000000087BC: D3B040A4 1E9279E4
	v_pk_fma_f32 v[166:167], v[230:231], v[60:61], v[166:167]  // 0000000087C4: D3B040A6 1E9A79E6
	v_pk_fma_f32 v[180:181], v[244:245], v[60:61], v[180:181]  // 0000000087CC: D3B040B4 1ED279F4
	v_pk_fma_f32 v[182:183], v[246:247], v[60:61], v[182:183]  // 0000000087D4: D3B040B6 1EDA79F6
	v_mul_f32_dpp v60, v38, v23 row_newbcast:0 row_mask:0xf bank_mask:0xf// 0000000087DC: 0A782EFA FF015026
	v_mov_b32_e32 v61, v60                                     // 0000000087E4: 7E7A033C
	v_pk_fma_f32 v[136:137], v[200:201], v[60:61], v[136:137]  // 0000000087E8: D3B04088 1E2279C8
	v_pk_fma_f32 v[138:139], v[202:203], v[60:61], v[138:139]  // 0000000087F0: D3B0408A 1E2A79CA
	v_pk_fma_f32 v[152:153], v[216:217], v[60:61], v[152:153]  // 0000000087F8: D3B04098 1E6279D8
	v_pk_fma_f32 v[154:155], v[218:219], v[60:61], v[154:155]  // 000000008800: D3B0409A 1E6A79DA
	v_mul_f32_dpp v60, v38, v23 row_newbcast:1 row_mask:0xf bank_mask:0xf// 000000008808: 0A782EFA FF015126
	v_mov_b32_e32 v61, v60                                     // 000000008810: 7E7A033C
	v_pk_fma_f32 v[168:169], v[232:233], v[60:61], v[168:169]  // 000000008814: D3B040A8 1EA279E8
	v_pk_fma_f32 v[170:171], v[234:235], v[60:61], v[170:171]  // 00000000881C: D3B040AA 1EAA79EA
	v_pk_fma_f32 v[184:185], v[248:249], v[60:61], v[184:185]  // 000000008824: D3B040B8 1EE279F8
	v_pk_fma_f32 v[186:187], v[250:251], v[60:61], v[186:187]  // 00000000882C: D3B040BA 1EEA79FA
	v_mul_f32_dpp v60, v38, v24 row_newbcast:0 row_mask:0xf bank_mask:0xf// 000000008834: 0A7830FA FF015026
	v_mov_b32_e32 v61, v60                                     // 00000000883C: 7E7A033C
	v_pk_fma_f32 v[140:141], v[204:205], v[60:61], v[140:141]  // 000000008840: D3B0408C 1E3279CC
	v_pk_fma_f32 v[142:143], v[206:207], v[60:61], v[142:143]  // 000000008848: D3B0408E 1E3A79CE
	v_pk_fma_f32 v[156:157], v[220:221], v[60:61], v[156:157]  // 000000008850: D3B0409C 1E7279DC
	v_pk_fma_f32 v[158:159], v[222:223], v[60:61], v[158:159]  // 000000008858: D3B0409E 1E7A79DE
	v_mul_f32_dpp v60, v38, v24 row_newbcast:1 row_mask:0xf bank_mask:0xf// 000000008860: 0A7830FA FF015126
	v_mov_b32_e32 v61, v60                                     // 000000008868: 7E7A033C
	v_pk_fma_f32 v[172:173], v[236:237], v[60:61], v[172:173]  // 00000000886C: D3B040AC 1EB279EC
	v_pk_fma_f32 v[174:175], v[238:239], v[60:61], v[174:175]  // 000000008874: D3B040AE 1EBA79EE
	v_pk_fma_f32 v[188:189], v[252:253], v[60:61], v[188:189]  // 00000000887C: D3B040BC 1EF279FC
	v_pk_fma_f32 v[190:191], v[254:255], v[60:61], v[190:191]  // 000000008884: D3B040BE 1EFA79FE
	s_waitcnt vmcnt(21)                                        // 00000000888C: BF8C4F75
	v_mfma_f32_16x16x128_f8f6f4 v[192:195], a[96:103], a[136:143], 0// 000000008890: D3AD00C0 1A031160
	v_mfma_f32_16x16x128_f8f6f4 v[196:199], a[96:103], a[152:159], 0// 000000008898: D3AD00C4 1A033160
	ds_read_b128 a[192:195], v2 offset:9472                    // 0000000088A0: DBFE2500 C0000002
	ds_read_b128 a[196:199], v2 offset:9536                    // 0000000088A8: DBFE2540 C4000002
	ds_read_b32 v29, v3 offset:17920                           // 0000000088B0: D86C4600 1D000003
	ds_read_b32 v30, v3 offset:18176                           // 0000000088B8: D86C4700 1E000003
	v_mfma_f32_16x16x128_f8f6f4 v[200:203], a[96:103], a[168:175], 0// 0000000088C0: D3AD00C8 1A035160
	v_mfma_f32_16x16x128_f8f6f4 v[204:207], a[96:103], a[184:191], 0// 0000000088C8: D3AD00CC 1A037160
	ds_read_b128 a[200:203], v2 offset:13696                   // 0000000088D0: DBFE3580 C8000002
	ds_read_b128 a[204:207], v2 offset:13760                   // 0000000088D8: DBFE35C0 CC000002
	ds_read_b32 v31, v3 offset:36864                           // 0000000088E0: D86C9000 1F000003
	ds_read_b32 v32, v3 offset:37120                           // 0000000088E8: D86C9100 20000003
	v_mfma_f32_16x16x128_f8f6f4 v[208:211], a[104:111], a[136:143], 0// 0000000088F0: D3AD00D0 1A031168
	v_mfma_f32_16x16x128_f8f6f4 v[212:215], a[104:111], a[152:159], 0// 0000000088F8: D3AD00D4 1A033168
	ds_read_b128 a[208:211], v2 offset:9984                    // 000000008900: DBFE2700 D0000002
	ds_read_b128 a[212:215], v2 offset:10048                   // 000000008908: DBFE2740 D4000002
	ds_read_b32 v33, v3 offset:18432                           // 000000008910: D86C4800 21000003
	ds_read_b32 v34, v3 offset:18688                           // 000000008918: D86C4900 22000003
	v_mfma_f32_16x16x128_f8f6f4 v[216:219], a[104:111], a[168:175], 0// 000000008920: D3AD00D8 1A035168
	v_mfma_f32_16x16x128_f8f6f4 v[220:223], a[104:111], a[184:191], 0// 000000008928: D3AD00DC 1A037168
	ds_read_b128 a[216:219], v2 offset:14208                   // 000000008930: DBFE3780 D8000002
	ds_read_b128 a[220:223], v2 offset:14272                   // 000000008938: DBFE37C0 DC000002
	ds_read_b32 v35, v3 offset:37376                           // 000000008940: D86C9200 23000003
	ds_read_b32 v36, v3 offset:37632                           // 000000008948: D86C9300 24000003
	s_waitcnt vmcnt(17)                                        // 000000008950: BF8C4F71
	v_mfma_f32_16x16x128_f8f6f4 v[224:227], a[112:119], a[136:143], 0// 000000008954: D3AD00E0 1A031170
	v_mfma_f32_16x16x128_f8f6f4 v[228:231], a[112:119], a[152:159], 0// 00000000895C: D3AD00E4 1A033170
	ds_read_b128 a[224:227], v2 offset:28416                   // 000000008964: DBFE6F00 E0000002
	ds_read_b128 a[228:231], v2 offset:28480                   // 00000000896C: DBFE6F40 E4000002
	v_mfma_f32_16x16x128_f8f6f4 v[232:235], a[112:119], a[168:175], 0// 000000008974: D3AD00E8 1A035170
	v_mfma_f32_16x16x128_f8f6f4 v[236:239], a[112:119], a[184:191], 0// 00000000897C: D3AD00EC 1A037170
	ds_read_b128 a[232:235], v2 offset:32640                   // 000000008984: DBFE7F80 E8000002
	ds_read_b128 a[236:239], v2 offset:32704                   // 00000000898C: DBFE7FC0 EC000002
	v_mfma_f32_16x16x128_f8f6f4 v[240:243], a[120:127], a[136:143], 0// 000000008994: D3AD00F0 1A031178
	v_mfma_f32_16x16x128_f8f6f4 v[244:247], a[120:127], a[152:159], 0// 00000000899C: D3AD00F4 1A033178
	ds_read_b128 a[240:243], v2 offset:28928                   // 0000000089A4: DBFE7100 F0000002
	ds_read_b128 a[244:247], v2 offset:28992                   // 0000000089AC: DBFE7140 F4000002
	v_mfma_f32_16x16x128_f8f6f4 v[248:251], a[120:127], a[168:175], 0// 0000000089B4: D3AD00F8 1A035178
	v_mfma_f32_16x16x128_f8f6f4 v[252:255], a[120:127], a[184:191], 0// 0000000089BC: D3AD00FC 1A037178
	ds_read_b128 a[248:251], v2 offset:33152                   // 0000000089C4: DBFE8180 F8000002
	ds_read_b128 a[252:255], v2 offset:33216                   // 0000000089CC: DBFE81C0 FC000002
	v_mul_f32_dpp v60, v38, v25 row_newbcast:2 row_mask:0xf bank_mask:0xf// 0000000089D4: 0A7832FA FF015226
	v_mov_b32_e32 v61, v60                                     // 0000000089DC: 7E7A033C
	v_pk_fma_f32 v[128:129], v[192:193], v[60:61], v[128:129]  // 0000000089E0: D3B04080 1E0279C0
	v_pk_fma_f32 v[130:131], v[194:195], v[60:61], v[130:131]  // 0000000089E8: D3B04082 1E0A79C2
	v_pk_fma_f32 v[144:145], v[208:209], v[60:61], v[144:145]  // 0000000089F0: D3B04090 1E4279D0
	v_pk_fma_f32 v[146:147], v[210:211], v[60:61], v[146:147]  // 0000000089F8: D3B04092 1E4A79D2
	v_mul_f32_dpp v60, v38, v25 row_newbcast:3 row_mask:0xf bank_mask:0xf// 000000008A00: 0A7832FA FF015326
	v_mov_b32_e32 v61, v60                                     // 000000008A08: 7E7A033C
	v_pk_fma_f32 v[160:161], v[224:225], v[60:61], v[160:161]  // 000000008A0C: D3B040A0 1E8279E0
	v_pk_fma_f32 v[162:163], v[226:227], v[60:61], v[162:163]  // 000000008A14: D3B040A2 1E8A79E2
	v_pk_fma_f32 v[176:177], v[240:241], v[60:61], v[176:177]  // 000000008A1C: D3B040B0 1EC279F0
	v_pk_fma_f32 v[178:179], v[242:243], v[60:61], v[178:179]  // 000000008A24: D3B040B2 1ECA79F2
	v_mul_f32_dpp v60, v38, v26 row_newbcast:2 row_mask:0xf bank_mask:0xf// 000000008A2C: 0A7834FA FF015226
	v_mov_b32_e32 v61, v60                                     // 000000008A34: 7E7A033C
	v_pk_fma_f32 v[132:133], v[196:197], v[60:61], v[132:133]  // 000000008A38: D3B04084 1E1279C4
	v_pk_fma_f32 v[134:135], v[198:199], v[60:61], v[134:135]  // 000000008A40: D3B04086 1E1A79C6
	v_pk_fma_f32 v[148:149], v[212:213], v[60:61], v[148:149]  // 000000008A48: D3B04094 1E5279D4
	v_pk_fma_f32 v[150:151], v[214:215], v[60:61], v[150:151]  // 000000008A50: D3B04096 1E5A79D6
	v_mul_f32_dpp v60, v38, v26 row_newbcast:3 row_mask:0xf bank_mask:0xf// 000000008A58: 0A7834FA FF015326
	v_mov_b32_e32 v61, v60                                     // 000000008A60: 7E7A033C
	v_pk_fma_f32 v[164:165], v[228:229], v[60:61], v[164:165]  // 000000008A64: D3B040A4 1E9279E4
	v_pk_fma_f32 v[166:167], v[230:231], v[60:61], v[166:167]  // 000000008A6C: D3B040A6 1E9A79E6
	v_pk_fma_f32 v[180:181], v[244:245], v[60:61], v[180:181]  // 000000008A74: D3B040B4 1ED279F4
	v_pk_fma_f32 v[182:183], v[246:247], v[60:61], v[182:183]  // 000000008A7C: D3B040B6 1EDA79F6
	v_mul_f32_dpp v60, v38, v27 row_newbcast:2 row_mask:0xf bank_mask:0xf// 000000008A84: 0A7836FA FF015226
	v_mov_b32_e32 v61, v60                                     // 000000008A8C: 7E7A033C
	v_pk_fma_f32 v[136:137], v[200:201], v[60:61], v[136:137]  // 000000008A90: D3B04088 1E2279C8
	v_pk_fma_f32 v[138:139], v[202:203], v[60:61], v[138:139]  // 000000008A98: D3B0408A 1E2A79CA
	v_pk_fma_f32 v[152:153], v[216:217], v[60:61], v[152:153]  // 000000008AA0: D3B04098 1E6279D8
	v_pk_fma_f32 v[154:155], v[218:219], v[60:61], v[154:155]  // 000000008AA8: D3B0409A 1E6A79DA
	v_mul_f32_dpp v60, v38, v27 row_newbcast:3 row_mask:0xf bank_mask:0xf// 000000008AB0: 0A7836FA FF015326
	v_mov_b32_e32 v61, v60                                     // 000000008AB8: 7E7A033C
	v_pk_fma_f32 v[168:169], v[232:233], v[60:61], v[168:169]  // 000000008ABC: D3B040A8 1EA279E8
	v_pk_fma_f32 v[170:171], v[234:235], v[60:61], v[170:171]  // 000000008AC4: D3B040AA 1EAA79EA
	v_pk_fma_f32 v[184:185], v[248:249], v[60:61], v[184:185]  // 000000008ACC: D3B040B8 1EE279F8
	v_pk_fma_f32 v[186:187], v[250:251], v[60:61], v[186:187]  // 000000008AD4: D3B040BA 1EEA79FA
	v_mul_f32_dpp v60, v38, v28 row_newbcast:2 row_mask:0xf bank_mask:0xf// 000000008ADC: 0A7838FA FF015226
	v_mov_b32_e32 v61, v60                                     // 000000008AE4: 7E7A033C
	v_pk_fma_f32 v[140:141], v[204:205], v[60:61], v[140:141]  // 000000008AE8: D3B0408C 1E3279CC
	v_pk_fma_f32 v[142:143], v[206:207], v[60:61], v[142:143]  // 000000008AF0: D3B0408E 1E3A79CE
	v_pk_fma_f32 v[156:157], v[220:221], v[60:61], v[156:157]  // 000000008AF8: D3B0409C 1E7279DC
	v_pk_fma_f32 v[158:159], v[222:223], v[60:61], v[158:159]  // 000000008B00: D3B0409E 1E7A79DE
	v_mul_f32_dpp v60, v38, v28 row_newbcast:3 row_mask:0xf bank_mask:0xf// 000000008B08: 0A7838FA FF015326
	v_mov_b32_e32 v61, v60                                     // 000000008B10: 7E7A033C
	v_pk_fma_f32 v[172:173], v[236:237], v[60:61], v[172:173]  // 000000008B14: D3B040AC 1EB279EC
	v_pk_fma_f32 v[174:175], v[238:239], v[60:61], v[174:175]  // 000000008B1C: D3B040AE 1EBA79EE
	v_pk_fma_f32 v[188:189], v[252:253], v[60:61], v[188:189]  // 000000008B24: D3B040BC 1EF279FC
	v_pk_fma_f32 v[190:191], v[254:255], v[60:61], v[190:191]  // 000000008B2C: D3B040BE 1EFA79FE
	s_add_u32 s56, 0x200, s76                                  // 000000008B34: 80384CFF 00000200
	s_cmp_lt_u32 s56, s77                                      // 000000008B3C: BF0A4D38
	s_cselect_b32 s53, s53, 0                                  // 000000008B40: 85358035
	s_cselect_b32 s3, s3, 0                                    // 000000008B44: 85038003
	s_add_u32 s56, 0x200, s76                                  // 000000008B48: 80384CFF 00000200
	s_cmp_lt_u32 s56, s77                                      // 000000008B50: BF0A4D38
	s_cselect_b32 s54, s54, 0                                  // 000000008B54: 85368036
	s_add_u32 s20, s53, s20                                    // 000000008B58: 80141435
	s_addc_u32 s21, 0, s21                                     // 000000008B5C: 82151580
	s_add_u32 s28, s3, s28                                     // 000000008B60: 801C1C03
	s_addc_u32 s29, 0, s29                                     // 000000008B64: 821D1D80
	s_add_u32 s24, s54, s24                                    // 000000008B68: 80181836
	s_addc_u32 s25, 0, s25                                     // 000000008B6C: 82191980
	s_add_u32 s96, s94, s96                                    // 000000008B70: 8060605E
	s_addc_u32 s97, 0, s97                                     // 000000008B74: 82616180
	s_addk_i32 s76, 0x100                                      // 000000008B78: B74C0100
	s_cmp_lt_i32 s76, s77                                      // 000000008B7C: BF044D4C
	s_cbranch_scc0 label_19F1                                  // 000000008B80: BF840290
	s_waitcnt vmcnt(12) lgkmcnt(0)                             // 000000008B84: BF8C007C
	s_barrier                                                  // 000000008B88: BF8A0000
	v_mfma_f32_16x16x128_f8f6f4 v[192:195], a[0:7], a[192:199], 0// 000000008B8C: D3AD00C0 1A038100
	buffer_load_dwordx4 v43, s[20:23], 0 offen lds             // 000000008B94: E05D1000 8005002B
	s_add_u32 m0, 0x1080, s48                                  // 000000008B9C: 807C30FF 00001080
	buffer_load_dwordx4 v44, s[20:23], 0 offen lds             // 000000008BA4: E05D1000 8005002C
	s_add_u32 m0, 0, s50                                       // 000000008BAC: 807C3280
	buffer_load_dwordx4 v45, s[20:23], 0 offen lds             // 000000008BB0: E05D1000 8005002D
	s_add_u32 m0, 0x1080, s50                                  // 000000008BB8: 807C32FF 00001080
	buffer_load_dwordx4 v46, s[20:23], 0 offen lds             // 000000008BC0: E05D1000 8005002E
	s_add_u32 m0, 0x1080, s48                                  // 000000008BC8: 807C30FF 00001080
	s_add_u32 m0, m0, s72                                      // 000000008BD0: 807C487C
	buffer_load_dword v9, s[28:31], 0 offen lds                // 000000008BD4: E0511000 80070009
	s_add_u32 m0, m0, 0x4a00                                   // 000000008BDC: 807CFF7C 00004A00
	buffer_load_dword v11, s[28:31], 0 offen lds               // 000000008BE4: E0511000 8007000B
	s_add_u32 m0, 0, s49                                       // 000000008BEC: 807C3180
	buffer_load_dword v38, v19, s[32:35], 0 offen              // 000000008BF0: E0501000 80082613
	buffer_load_dwordx4 a[64:67], v47, s[96:99], 0 offen       // 000000008BF8: E05C1000 8098402F
	buffer_load_dwordx4 a[68:71], v47, s[96:99], 0 offen offset:1024// 000000008C00: E05C1400 8098442F
	v_mfma_f32_16x16x128_f8f6f4 v[196:199], a[0:7], a[208:215], 0// 000000008C08: D3AD00C4 1A03A100
	v_mfma_f32_16x16x128_f8f6f4 v[200:203], a[0:7], a[224:231], 0// 000000008C10: D3AD00C8 1A03C100
	buffer_load_dwordx4 a[72:75], v48, s[96:99], 0 offen       // 000000008C18: E05C1000 80984830
	buffer_load_dwordx4 a[76:79], v48, s[96:99], 0 offen offset:1024// 000000008C20: E05C1400 80984C30
	v_mfma_f32_16x16x128_f8f6f4 v[204:207], a[0:7], a[240:247], 0// 000000008C28: D3AD00CC 1A03E100
	v_mfma_f32_16x16x128_f8f6f4 v[208:211], a[8:15], a[192:199], 0// 000000008C30: D3AD00D0 1A038108
	buffer_load_dwordx4 a[80:83], v49, s[96:99], 0 offen       // 000000008C38: E05C1000 80985031
	buffer_load_dwordx4 a[84:87], v49, s[96:99], 0 offen offset:1024// 000000008C40: E05C1400 80985431
	v_mfma_f32_16x16x128_f8f6f4 v[212:215], a[8:15], a[208:215], 0// 000000008C48: D3AD00D4 1A03A108
	v_mfma_f32_16x16x128_f8f6f4 v[216:219], a[8:15], a[224:231], 0// 000000008C50: D3AD00D8 1A03C108
	buffer_load_dwordx4 a[88:91], v50, s[96:99], 0 offen       // 000000008C58: E05C1000 80985832
	buffer_load_dwordx4 a[92:95], v50, s[96:99], 0 offen offset:1024// 000000008C60: E05C1400 80985C32
	v_mfma_f32_16x16x128_f8f6f4 v[220:223], a[8:15], a[240:247], 0// 000000008C68: D3AD00DC 1A03E108
	s_waitcnt vmcnt(23)                                        // 000000008C70: BF8C4F77
	v_mfma_f32_16x16x128_f8f6f4 v[224:227], a[16:23], a[192:199], 0// 000000008C74: D3AD00E0 1A038110
	buffer_load_dwordx4 a[96:99], v47, s[96:99], 0 offen offset:2048// 000000008C7C: E05C1800 8098602F
	buffer_load_dwordx4 a[100:103], v47, s[96:99], 0 offen offset:3072// 000000008C84: E05C1C00 8098642F
	v_mfma_f32_16x16x128_f8f6f4 v[228:231], a[16:23], a[208:215], 0// 000000008C8C: D3AD00E4 1A03A110
	v_mfma_f32_16x16x128_f8f6f4 v[232:235], a[16:23], a[224:231], 0// 000000008C94: D3AD00E8 1A03C110
	buffer_load_dwordx4 a[104:107], v48, s[96:99], 0 offen offset:2048// 000000008C9C: E05C1800 80986830
	buffer_load_dwordx4 a[108:111], v48, s[96:99], 0 offen offset:3072// 000000008CA4: E05C1C00 80986C30
	v_mfma_f32_16x16x128_f8f6f4 v[236:239], a[16:23], a[240:247], 0// 000000008CAC: D3AD00EC 1A03E110
	v_mfma_f32_16x16x128_f8f6f4 v[240:243], a[24:31], a[192:199], 0// 000000008CB4: D3AD00F0 1A038118
	buffer_load_dwordx4 a[112:115], v49, s[96:99], 0 offen offset:2048// 000000008CBC: E05C1800 80987031
	buffer_load_dwordx4 a[116:119], v49, s[96:99], 0 offen offset:3072// 000000008CC4: E05C1C00 80987431
	v_mfma_f32_16x16x128_f8f6f4 v[244:247], a[24:31], a[208:215], 0// 000000008CCC: D3AD00F4 1A03A118
	v_mfma_f32_16x16x128_f8f6f4 v[248:251], a[24:31], a[224:231], 0// 000000008CD4: D3AD00F8 1A03C118
	buffer_load_dwordx4 a[120:123], v50, s[96:99], 0 offen offset:2048// 000000008CDC: E05C1800 80987832
	buffer_load_dwordx4 a[124:127], v50, s[96:99], 0 offen offset:3072// 000000008CE4: E05C1C00 80987C32
	v_mfma_f32_16x16x128_f8f6f4 v[252:255], a[24:31], a[240:247], 0// 000000008CEC: D3AD00FC 1A03E118
	v_mul_f32_dpp v60, v37, v29 row_newbcast:0 row_mask:0xf bank_mask:0xf// 000000008CF4: 0A783AFA FF015025
	v_mov_b32_e32 v61, v60                                     // 000000008CFC: 7E7A033C
	v_pk_fma_f32 v[64:65], v[192:193], v[60:61], v[64:65]      // 000000008D00: D3B04040 1D0279C0
	v_pk_fma_f32 v[66:67], v[194:195], v[60:61], v[66:67]      // 000000008D08: D3B04042 1D0A79C2
	v_pk_fma_f32 v[80:81], v[208:209], v[60:61], v[80:81]      // 000000008D10: D3B04050 1D4279D0
	v_pk_fma_f32 v[82:83], v[210:211], v[60:61], v[82:83]      // 000000008D18: D3B04052 1D4A79D2
	v_mul_f32_dpp v60, v37, v29 row_newbcast:1 row_mask:0xf bank_mask:0xf// 000000008D20: 0A783AFA FF015125
	v_mov_b32_e32 v61, v60                                     // 000000008D28: 7E7A033C
	v_pk_fma_f32 v[96:97], v[224:225], v[60:61], v[96:97]      // 000000008D2C: D3B04060 1D8279E0
	v_pk_fma_f32 v[98:99], v[226:227], v[60:61], v[98:99]      // 000000008D34: D3B04062 1D8A79E2
	v_pk_fma_f32 v[112:113], v[240:241], v[60:61], v[112:113]  // 000000008D3C: D3B04070 1DC279F0
	v_pk_fma_f32 v[114:115], v[242:243], v[60:61], v[114:115]  // 000000008D44: D3B04072 1DCA79F2
	v_mul_f32_dpp v60, v37, v30 row_newbcast:0 row_mask:0xf bank_mask:0xf// 000000008D4C: 0A783CFA FF015025
	v_mov_b32_e32 v61, v60                                     // 000000008D54: 7E7A033C
	v_pk_fma_f32 v[68:69], v[196:197], v[60:61], v[68:69]      // 000000008D58: D3B04044 1D1279C4
	v_pk_fma_f32 v[70:71], v[198:199], v[60:61], v[70:71]      // 000000008D60: D3B04046 1D1A79C6
	v_pk_fma_f32 v[84:85], v[212:213], v[60:61], v[84:85]      // 000000008D68: D3B04054 1D5279D4
	v_pk_fma_f32 v[86:87], v[214:215], v[60:61], v[86:87]      // 000000008D70: D3B04056 1D5A79D6
	v_mul_f32_dpp v60, v37, v30 row_newbcast:1 row_mask:0xf bank_mask:0xf// 000000008D78: 0A783CFA FF015125
	v_mov_b32_e32 v61, v60                                     // 000000008D80: 7E7A033C
	v_pk_fma_f32 v[100:101], v[228:229], v[60:61], v[100:101]  // 000000008D84: D3B04064 1D9279E4
	v_pk_fma_f32 v[102:103], v[230:231], v[60:61], v[102:103]  // 000000008D8C: D3B04066 1D9A79E6
	v_pk_fma_f32 v[116:117], v[244:245], v[60:61], v[116:117]  // 000000008D94: D3B04074 1DD279F4
	v_pk_fma_f32 v[118:119], v[246:247], v[60:61], v[118:119]  // 000000008D9C: D3B04076 1DDA79F6
	v_mul_f32_dpp v60, v37, v31 row_newbcast:0 row_mask:0xf bank_mask:0xf// 000000008DA4: 0A783EFA FF015025
	v_mov_b32_e32 v61, v60                                     // 000000008DAC: 7E7A033C
	v_pk_fma_f32 v[72:73], v[200:201], v[60:61], v[72:73]      // 000000008DB0: D3B04048 1D2279C8
	v_pk_fma_f32 v[74:75], v[202:203], v[60:61], v[74:75]      // 000000008DB8: D3B0404A 1D2A79CA
	v_pk_fma_f32 v[88:89], v[216:217], v[60:61], v[88:89]      // 000000008DC0: D3B04058 1D6279D8
	v_pk_fma_f32 v[90:91], v[218:219], v[60:61], v[90:91]      // 000000008DC8: D3B0405A 1D6A79DA
	v_mul_f32_dpp v60, v37, v31 row_newbcast:1 row_mask:0xf bank_mask:0xf// 000000008DD0: 0A783EFA FF015125
	v_mov_b32_e32 v61, v60                                     // 000000008DD8: 7E7A033C
	v_pk_fma_f32 v[104:105], v[232:233], v[60:61], v[104:105]  // 000000008DDC: D3B04068 1DA279E8
	v_pk_fma_f32 v[106:107], v[234:235], v[60:61], v[106:107]  // 000000008DE4: D3B0406A 1DAA79EA
	v_pk_fma_f32 v[120:121], v[248:249], v[60:61], v[120:121]  // 000000008DEC: D3B04078 1DE279F8
	v_pk_fma_f32 v[122:123], v[250:251], v[60:61], v[122:123]  // 000000008DF4: D3B0407A 1DEA79FA
	v_mul_f32_dpp v60, v37, v32 row_newbcast:0 row_mask:0xf bank_mask:0xf// 000000008DFC: 0A7840FA FF015025
	v_mov_b32_e32 v61, v60                                     // 000000008E04: 7E7A033C
	v_pk_fma_f32 v[76:77], v[204:205], v[60:61], v[76:77]      // 000000008E08: D3B0404C 1D3279CC
	v_pk_fma_f32 v[78:79], v[206:207], v[60:61], v[78:79]      // 000000008E10: D3B0404E 1D3A79CE
	v_pk_fma_f32 v[92:93], v[220:221], v[60:61], v[92:93]      // 000000008E18: D3B0405C 1D7279DC
	v_pk_fma_f32 v[94:95], v[222:223], v[60:61], v[94:95]      // 000000008E20: D3B0405E 1D7A79DE
	v_mul_f32_dpp v60, v37, v32 row_newbcast:1 row_mask:0xf bank_mask:0xf// 000000008E28: 0A7840FA FF015125
	v_mov_b32_e32 v61, v60                                     // 000000008E30: 7E7A033C
	v_pk_fma_f32 v[108:109], v[236:237], v[60:61], v[108:109]  // 000000008E34: D3B0406C 1DB279EC
	v_pk_fma_f32 v[110:111], v[238:239], v[60:61], v[110:111]  // 000000008E3C: D3B0406E 1DBA79EE
	v_pk_fma_f32 v[124:125], v[252:253], v[60:61], v[124:125]  // 000000008E44: D3B0407C 1DF279FC
	v_pk_fma_f32 v[126:127], v[254:255], v[60:61], v[126:127]  // 000000008E4C: D3B0407E 1DFA79FE
	s_waitcnt vmcnt(27)                                        // 000000008E54: BF8C4F7B
	v_mfma_f32_16x16x128_f8f6f4 v[192:195], a[32:39], a[200:207], 0// 000000008E58: D3AD00C0 1A039120
	v_mfma_f32_16x16x128_f8f6f4 v[196:199], a[32:39], a[216:223], 0// 000000008E60: D3AD00C4 1A03B120
	v_mfma_f32_16x16x128_f8f6f4 v[200:203], a[32:39], a[232:239], 0// 000000008E68: D3AD00C8 1A03D120
	v_mfma_f32_16x16x128_f8f6f4 v[204:207], a[32:39], a[248:255], 0// 000000008E70: D3AD00CC 1A03F120
	v_mfma_f32_16x16x128_f8f6f4 v[208:211], a[40:47], a[200:207], 0// 000000008E78: D3AD00D0 1A039128
	v_mfma_f32_16x16x128_f8f6f4 v[212:215], a[40:47], a[216:223], 0// 000000008E80: D3AD00D4 1A03B128
	v_mfma_f32_16x16x128_f8f6f4 v[216:219], a[40:47], a[232:239], 0// 000000008E88: D3AD00D8 1A03D128
	v_mfma_f32_16x16x128_f8f6f4 v[220:223], a[40:47], a[248:255], 0// 000000008E90: D3AD00DC 1A03F128
	s_waitcnt vmcnt(23)                                        // 000000008E98: BF8C4F77
	v_mfma_f32_16x16x128_f8f6f4 v[224:227], a[48:55], a[200:207], 0// 000000008E9C: D3AD00E0 1A039130
	v_mfma_f32_16x16x128_f8f6f4 v[228:231], a[48:55], a[216:223], 0// 000000008EA4: D3AD00E4 1A03B130
	v_mfma_f32_16x16x128_f8f6f4 v[232:235], a[48:55], a[232:239], 0// 000000008EAC: D3AD00E8 1A03D130
	v_mfma_f32_16x16x128_f8f6f4 v[236:239], a[48:55], a[248:255], 0// 000000008EB4: D3AD00EC 1A03F130
	v_mfma_f32_16x16x128_f8f6f4 v[240:243], a[56:63], a[200:207], 0// 000000008EBC: D3AD00F0 1A039138
	v_mfma_f32_16x16x128_f8f6f4 v[244:247], a[56:63], a[216:223], 0// 000000008EC4: D3AD00F4 1A03B138
	v_mfma_f32_16x16x128_f8f6f4 v[248:251], a[56:63], a[232:239], 0// 000000008ECC: D3AD00F8 1A03D138
	v_mfma_f32_16x16x128_f8f6f4 v[252:255], a[56:63], a[248:255], 0// 000000008ED4: D3AD00FC 1A03F138
	v_mul_f32_dpp v60, v37, v33 row_newbcast:2 row_mask:0xf bank_mask:0xf// 000000008EDC: 0A7842FA FF015225
	v_mov_b32_e32 v61, v60                                     // 000000008EE4: 7E7A033C
	v_pk_fma_f32 v[64:65], v[192:193], v[60:61], v[64:65]      // 000000008EE8: D3B04040 1D0279C0
	v_pk_fma_f32 v[66:67], v[194:195], v[60:61], v[66:67]      // 000000008EF0: D3B04042 1D0A79C2
	v_pk_fma_f32 v[80:81], v[208:209], v[60:61], v[80:81]      // 000000008EF8: D3B04050 1D4279D0
	v_pk_fma_f32 v[82:83], v[210:211], v[60:61], v[82:83]      // 000000008F00: D3B04052 1D4A79D2
	v_mul_f32_dpp v60, v37, v33 row_newbcast:3 row_mask:0xf bank_mask:0xf// 000000008F08: 0A7842FA FF015325
	v_mov_b32_e32 v61, v60                                     // 000000008F10: 7E7A033C
	v_pk_fma_f32 v[96:97], v[224:225], v[60:61], v[96:97]      // 000000008F14: D3B04060 1D8279E0
	v_pk_fma_f32 v[98:99], v[226:227], v[60:61], v[98:99]      // 000000008F1C: D3B04062 1D8A79E2
	v_pk_fma_f32 v[112:113], v[240:241], v[60:61], v[112:113]  // 000000008F24: D3B04070 1DC279F0
	v_pk_fma_f32 v[114:115], v[242:243], v[60:61], v[114:115]  // 000000008F2C: D3B04072 1DCA79F2
	v_mul_f32_dpp v60, v37, v34 row_newbcast:2 row_mask:0xf bank_mask:0xf// 000000008F34: 0A7844FA FF015225
	v_mov_b32_e32 v61, v60                                     // 000000008F3C: 7E7A033C
	v_pk_fma_f32 v[68:69], v[196:197], v[60:61], v[68:69]      // 000000008F40: D3B04044 1D1279C4
	v_pk_fma_f32 v[70:71], v[198:199], v[60:61], v[70:71]      // 000000008F48: D3B04046 1D1A79C6
	v_pk_fma_f32 v[84:85], v[212:213], v[60:61], v[84:85]      // 000000008F50: D3B04054 1D5279D4
	v_pk_fma_f32 v[86:87], v[214:215], v[60:61], v[86:87]      // 000000008F58: D3B04056 1D5A79D6
	v_mul_f32_dpp v60, v37, v34 row_newbcast:3 row_mask:0xf bank_mask:0xf// 000000008F60: 0A7844FA FF015325
	v_mov_b32_e32 v61, v60                                     // 000000008F68: 7E7A033C
	v_pk_fma_f32 v[100:101], v[228:229], v[60:61], v[100:101]  // 000000008F6C: D3B04064 1D9279E4
	v_pk_fma_f32 v[102:103], v[230:231], v[60:61], v[102:103]  // 000000008F74: D3B04066 1D9A79E6
	v_pk_fma_f32 v[116:117], v[244:245], v[60:61], v[116:117]  // 000000008F7C: D3B04074 1DD279F4
	v_pk_fma_f32 v[118:119], v[246:247], v[60:61], v[118:119]  // 000000008F84: D3B04076 1DDA79F6
	v_mul_f32_dpp v60, v37, v35 row_newbcast:2 row_mask:0xf bank_mask:0xf// 000000008F8C: 0A7846FA FF015225
	v_mov_b32_e32 v61, v60                                     // 000000008F94: 7E7A033C
	v_pk_fma_f32 v[72:73], v[200:201], v[60:61], v[72:73]      // 000000008F98: D3B04048 1D2279C8
	v_pk_fma_f32 v[74:75], v[202:203], v[60:61], v[74:75]      // 000000008FA0: D3B0404A 1D2A79CA
	v_pk_fma_f32 v[88:89], v[216:217], v[60:61], v[88:89]      // 000000008FA8: D3B04058 1D6279D8
	v_pk_fma_f32 v[90:91], v[218:219], v[60:61], v[90:91]      // 000000008FB0: D3B0405A 1D6A79DA
	v_mul_f32_dpp v60, v37, v35 row_newbcast:3 row_mask:0xf bank_mask:0xf// 000000008FB8: 0A7846FA FF015325
	v_mov_b32_e32 v61, v60                                     // 000000008FC0: 7E7A033C
	v_pk_fma_f32 v[104:105], v[232:233], v[60:61], v[104:105]  // 000000008FC4: D3B04068 1DA279E8
	v_pk_fma_f32 v[106:107], v[234:235], v[60:61], v[106:107]  // 000000008FCC: D3B0406A 1DAA79EA
	v_pk_fma_f32 v[120:121], v[248:249], v[60:61], v[120:121]  // 000000008FD4: D3B04078 1DE279F8
	v_pk_fma_f32 v[122:123], v[250:251], v[60:61], v[122:123]  // 000000008FDC: D3B0407A 1DEA79FA
	v_mul_f32_dpp v60, v37, v36 row_newbcast:2 row_mask:0xf bank_mask:0xf// 000000008FE4: 0A7848FA FF015225
	v_mov_b32_e32 v61, v60                                     // 000000008FEC: 7E7A033C
	v_pk_fma_f32 v[76:77], v[204:205], v[60:61], v[76:77]      // 000000008FF0: D3B0404C 1D3279CC
	v_pk_fma_f32 v[78:79], v[206:207], v[60:61], v[78:79]      // 000000008FF8: D3B0404E 1D3A79CE
	v_pk_fma_f32 v[92:93], v[220:221], v[60:61], v[92:93]      // 000000009000: D3B0405C 1D7279DC
	v_pk_fma_f32 v[94:95], v[222:223], v[60:61], v[94:95]      // 000000009008: D3B0405E 1D7A79DE
	v_mul_f32_dpp v60, v37, v36 row_newbcast:3 row_mask:0xf bank_mask:0xf// 000000009010: 0A7848FA FF015325
	v_mov_b32_e32 v61, v60                                     // 000000009018: 7E7A033C
	v_pk_fma_f32 v[108:109], v[236:237], v[60:61], v[108:109]  // 00000000901C: D3B0406C 1DB279EC
	v_pk_fma_f32 v[110:111], v[238:239], v[60:61], v[110:111]  // 000000009024: D3B0406E 1DBA79EE
	v_pk_fma_f32 v[124:125], v[252:253], v[60:61], v[124:125]  // 00000000902C: D3B0407C 1DF279FC
	v_pk_fma_f32 v[126:127], v[254:255], v[60:61], v[126:127]  // 000000009034: D3B0407E 1DFA79FE
	s_add_u32 s56, 0x100, s76                                  // 00000000903C: 80384CFF 00000100
	s_cmp_lt_u32 s56, s77                                      // 000000009044: BF0A4D38
	s_cselect_b32 s4, s4, 0                                    // 000000009048: 85048004
	s_add_u32 s32, s4, s32                                     // 00000000904C: 80202004
	s_addc_u32 s33, 0, s33                                     // 000000009050: 82212180
	s_waitcnt vmcnt(12)                                        // 000000009054: BF8C0F7C
	s_barrier                                                  // 000000009058: BF8A0000
	v_mfma_f32_16x16x128_f8f6f4 v[192:195], a[64:71], a[192:199], 0// 00000000905C: D3AD00C0 1A038140
	buffer_load_dword v37, v17, s[32:35], 0 offen              // 000000009064: E0501000 80082511
	buffer_load_dwordx4 a[0:3], v47, s[24:27], 0 offen         // 00000000906C: E05C1000 8086002F
	buffer_load_dwordx4 a[4:7], v47, s[24:27], 0 offen offset:1024// 000000009074: E05C1400 8086042F
	v_mfma_f32_16x16x128_f8f6f4 v[196:199], a[64:71], a[208:215], 0// 00000000907C: D3AD00C4 1A03A140
	v_mfma_f32_16x16x128_f8f6f4 v[200:203], a[64:71], a[224:231], 0// 000000009084: D3AD00C8 1A03C140
	buffer_load_dwordx4 a[8:11], v48, s[24:27], 0 offen        // 00000000908C: E05C1000 80860830
	buffer_load_dwordx4 a[12:15], v48, s[24:27], 0 offen offset:1024// 000000009094: E05C1400 80860C30
	v_mfma_f32_16x16x128_f8f6f4 v[204:207], a[64:71], a[240:247], 0// 00000000909C: D3AD00CC 1A03E140
	v_mfma_f32_16x16x128_f8f6f4 v[208:211], a[72:79], a[192:199], 0// 0000000090A4: D3AD00D0 1A038148
	buffer_load_dwordx4 a[16:19], v49, s[24:27], 0 offen       // 0000000090AC: E05C1000 80861031
	buffer_load_dwordx4 a[20:23], v49, s[24:27], 0 offen offset:1024// 0000000090B4: E05C1400 80861431
	v_mfma_f32_16x16x128_f8f6f4 v[212:215], a[72:79], a[208:215], 0// 0000000090BC: D3AD00D4 1A03A148
	v_mfma_f32_16x16x128_f8f6f4 v[216:219], a[72:79], a[224:231], 0// 0000000090C4: D3AD00D8 1A03C148
	buffer_load_dwordx4 a[24:27], v50, s[24:27], 0 offen       // 0000000090CC: E05C1000 80861832
	buffer_load_dwordx4 a[28:31], v50, s[24:27], 0 offen offset:1024// 0000000090D4: E05C1400 80861C32
	v_mfma_f32_16x16x128_f8f6f4 v[220:223], a[72:79], a[240:247], 0// 0000000090DC: D3AD00DC 1A03E148
	s_waitcnt vmcnt(17)                                        // 0000000090E4: BF8C4F71
	v_mfma_f32_16x16x128_f8f6f4 v[224:227], a[80:87], a[192:199], 0// 0000000090E8: D3AD00E0 1A038150
	buffer_load_dwordx4 a[32:35], v47, s[24:27], 0 offen offset:2048// 0000000090F0: E05C1800 8086202F
	buffer_load_dwordx4 a[36:39], v47, s[24:27], 0 offen offset:3072// 0000000090F8: E05C1C00 8086242F
	v_mfma_f32_16x16x128_f8f6f4 v[228:231], a[80:87], a[208:215], 0// 000000009100: D3AD00E4 1A03A150
	v_mfma_f32_16x16x128_f8f6f4 v[232:235], a[80:87], a[224:231], 0// 000000009108: D3AD00E8 1A03C150
	buffer_load_dwordx4 a[40:43], v48, s[24:27], 0 offen offset:2048// 000000009110: E05C1800 80862830
	buffer_load_dwordx4 a[44:47], v48, s[24:27], 0 offen offset:3072// 000000009118: E05C1C00 80862C30
	v_mfma_f32_16x16x128_f8f6f4 v[236:239], a[80:87], a[240:247], 0// 000000009120: D3AD00EC 1A03E150
	v_mfma_f32_16x16x128_f8f6f4 v[240:243], a[88:95], a[192:199], 0// 000000009128: D3AD00F0 1A038158
	buffer_load_dwordx4 a[48:51], v49, s[24:27], 0 offen offset:2048// 000000009130: E05C1800 80863031
	buffer_load_dwordx4 a[52:55], v49, s[24:27], 0 offen offset:3072// 000000009138: E05C1C00 80863431
	v_mfma_f32_16x16x128_f8f6f4 v[244:247], a[88:95], a[208:215], 0// 000000009140: D3AD00F4 1A03A158
	v_mfma_f32_16x16x128_f8f6f4 v[248:251], a[88:95], a[224:231], 0// 000000009148: D3AD00F8 1A03C158
	buffer_load_dwordx4 a[56:59], v50, s[24:27], 0 offen offset:2048// 000000009150: E05C1800 80863832
	buffer_load_dwordx4 a[60:63], v50, s[24:27], 0 offen offset:3072// 000000009158: E05C1C00 80863C32
	v_mfma_f32_16x16x128_f8f6f4 v[252:255], a[88:95], a[240:247], 0// 000000009160: D3AD00FC 1A03E158
	v_mul_f32_dpp v60, v38, v29 row_newbcast:0 row_mask:0xf bank_mask:0xf// 000000009168: 0A783AFA FF015026
	v_mov_b32_e32 v61, v60                                     // 000000009170: 7E7A033C
	v_pk_fma_f32 v[128:129], v[192:193], v[60:61], v[128:129]  // 000000009174: D3B04080 1E0279C0
	v_pk_fma_f32 v[130:131], v[194:195], v[60:61], v[130:131]  // 00000000917C: D3B04082 1E0A79C2
	v_pk_fma_f32 v[144:145], v[208:209], v[60:61], v[144:145]  // 000000009184: D3B04090 1E4279D0
	v_pk_fma_f32 v[146:147], v[210:211], v[60:61], v[146:147]  // 00000000918C: D3B04092 1E4A79D2
	v_mul_f32_dpp v60, v38, v29 row_newbcast:1 row_mask:0xf bank_mask:0xf// 000000009194: 0A783AFA FF015126
	v_mov_b32_e32 v61, v60                                     // 00000000919C: 7E7A033C
	v_pk_fma_f32 v[160:161], v[224:225], v[60:61], v[160:161]  // 0000000091A0: D3B040A0 1E8279E0
	v_pk_fma_f32 v[162:163], v[226:227], v[60:61], v[162:163]  // 0000000091A8: D3B040A2 1E8A79E2
	v_pk_fma_f32 v[176:177], v[240:241], v[60:61], v[176:177]  // 0000000091B0: D3B040B0 1EC279F0
	v_pk_fma_f32 v[178:179], v[242:243], v[60:61], v[178:179]  // 0000000091B8: D3B040B2 1ECA79F2
	v_mul_f32_dpp v60, v38, v30 row_newbcast:0 row_mask:0xf bank_mask:0xf// 0000000091C0: 0A783CFA FF015026
	v_mov_b32_e32 v61, v60                                     // 0000000091C8: 7E7A033C
	v_pk_fma_f32 v[132:133], v[196:197], v[60:61], v[132:133]  // 0000000091CC: D3B04084 1E1279C4
	v_pk_fma_f32 v[134:135], v[198:199], v[60:61], v[134:135]  // 0000000091D4: D3B04086 1E1A79C6
	v_pk_fma_f32 v[148:149], v[212:213], v[60:61], v[148:149]  // 0000000091DC: D3B04094 1E5279D4
	v_pk_fma_f32 v[150:151], v[214:215], v[60:61], v[150:151]  // 0000000091E4: D3B04096 1E5A79D6
	v_mul_f32_dpp v60, v38, v30 row_newbcast:1 row_mask:0xf bank_mask:0xf// 0000000091EC: 0A783CFA FF015126
	v_mov_b32_e32 v61, v60                                     // 0000000091F4: 7E7A033C
	v_pk_fma_f32 v[164:165], v[228:229], v[60:61], v[164:165]  // 0000000091F8: D3B040A4 1E9279E4
	v_pk_fma_f32 v[166:167], v[230:231], v[60:61], v[166:167]  // 000000009200: D3B040A6 1E9A79E6
	v_pk_fma_f32 v[180:181], v[244:245], v[60:61], v[180:181]  // 000000009208: D3B040B4 1ED279F4
	v_pk_fma_f32 v[182:183], v[246:247], v[60:61], v[182:183]  // 000000009210: D3B040B6 1EDA79F6
	v_mul_f32_dpp v60, v38, v31 row_newbcast:0 row_mask:0xf bank_mask:0xf// 000000009218: 0A783EFA FF015026
	v_mov_b32_e32 v61, v60                                     // 000000009220: 7E7A033C
	v_pk_fma_f32 v[136:137], v[200:201], v[60:61], v[136:137]  // 000000009224: D3B04088 1E2279C8
	v_pk_fma_f32 v[138:139], v[202:203], v[60:61], v[138:139]  // 00000000922C: D3B0408A 1E2A79CA
	v_pk_fma_f32 v[152:153], v[216:217], v[60:61], v[152:153]  // 000000009234: D3B04098 1E6279D8
	v_pk_fma_f32 v[154:155], v[218:219], v[60:61], v[154:155]  // 00000000923C: D3B0409A 1E6A79DA
	v_mul_f32_dpp v60, v38, v31 row_newbcast:1 row_mask:0xf bank_mask:0xf// 000000009244: 0A783EFA FF015126
	v_mov_b32_e32 v61, v60                                     // 00000000924C: 7E7A033C
	v_pk_fma_f32 v[168:169], v[232:233], v[60:61], v[168:169]  // 000000009250: D3B040A8 1EA279E8
	v_pk_fma_f32 v[170:171], v[234:235], v[60:61], v[170:171]  // 000000009258: D3B040AA 1EAA79EA
	v_pk_fma_f32 v[184:185], v[248:249], v[60:61], v[184:185]  // 000000009260: D3B040B8 1EE279F8
	v_pk_fma_f32 v[186:187], v[250:251], v[60:61], v[186:187]  // 000000009268: D3B040BA 1EEA79FA
	v_mul_f32_dpp v60, v38, v32 row_newbcast:0 row_mask:0xf bank_mask:0xf// 000000009270: 0A7840FA FF015026
	v_mov_b32_e32 v61, v60                                     // 000000009278: 7E7A033C
	v_pk_fma_f32 v[140:141], v[204:205], v[60:61], v[140:141]  // 00000000927C: D3B0408C 1E3279CC
	v_pk_fma_f32 v[142:143], v[206:207], v[60:61], v[142:143]  // 000000009284: D3B0408E 1E3A79CE
	v_pk_fma_f32 v[156:157], v[220:221], v[60:61], v[156:157]  // 00000000928C: D3B0409C 1E7279DC
	v_pk_fma_f32 v[158:159], v[222:223], v[60:61], v[158:159]  // 000000009294: D3B0409E 1E7A79DE
	v_mul_f32_dpp v60, v38, v32 row_newbcast:1 row_mask:0xf bank_mask:0xf// 00000000929C: 0A7840FA FF015126
	v_mov_b32_e32 v61, v60                                     // 0000000092A4: 7E7A033C
	v_pk_fma_f32 v[172:173], v[236:237], v[60:61], v[172:173]  // 0000000092A8: D3B040AC 1EB279EC
	v_pk_fma_f32 v[174:175], v[238:239], v[60:61], v[174:175]  // 0000000092B0: D3B040AE 1EBA79EE
	v_pk_fma_f32 v[188:189], v[252:253], v[60:61], v[188:189]  // 0000000092B8: D3B040BC 1EF279FC
	v_pk_fma_f32 v[190:191], v[254:255], v[60:61], v[190:191]  // 0000000092C0: D3B040BE 1EFA79FE
	s_waitcnt vmcnt(21)                                        // 0000000092C8: BF8C4F75
	v_mfma_f32_16x16x128_f8f6f4 v[192:195], a[96:103], a[200:207], 0// 0000000092CC: D3AD00C0 1A039160
	v_mfma_f32_16x16x128_f8f6f4 v[196:199], a[96:103], a[216:223], 0// 0000000092D4: D3AD00C4 1A03B160
	ds_read_b128 a[128:131], v2                                // 0000000092DC: DBFE0000 80000002
	ds_read_b128 a[132:135], v2 offset:64                      // 0000000092E4: DBFE0040 84000002
	ds_read_b32 v21, v3 offset:8448                            // 0000000092EC: D86C2100 15000003
	ds_read_b32 v22, v3 offset:8704                            // 0000000092F4: D86C2200 16000003
	v_mfma_f32_16x16x128_f8f6f4 v[200:203], a[96:103], a[232:239], 0// 0000000092FC: D3AD00C8 1A03D160
	v_mfma_f32_16x16x128_f8f6f4 v[204:207], a[96:103], a[248:255], 0// 000000009304: D3AD00CC 1A03F160
	ds_read_b128 a[136:139], v2 offset:4224                    // 00000000930C: DBFE1080 88000002
	ds_read_b128 a[140:143], v2 offset:4288                    // 000000009314: DBFE10C0 8C000002
	ds_read_b32 v23, v3 offset:27392                           // 00000000931C: D86C6B00 17000003
	ds_read_b32 v24, v3 offset:27648                           // 000000009324: D86C6C00 18000003
	v_mfma_f32_16x16x128_f8f6f4 v[208:211], a[104:111], a[200:207], 0// 00000000932C: D3AD00D0 1A039168
	v_mfma_f32_16x16x128_f8f6f4 v[212:215], a[104:111], a[216:223], 0// 000000009334: D3AD00D4 1A03B168
	ds_read_b128 a[144:147], v2 offset:512                     // 00000000933C: DBFE0200 90000002
	ds_read_b128 a[148:151], v2 offset:576                     // 000000009344: DBFE0240 94000002
	ds_read_b32 v25, v3 offset:8960                            // 00000000934C: D86C2300 19000003
	ds_read_b32 v26, v3 offset:9216                            // 000000009354: D86C2400 1A000003
	v_mfma_f32_16x16x128_f8f6f4 v[216:219], a[104:111], a[232:239], 0// 00000000935C: D3AD00D8 1A03D168
	v_mfma_f32_16x16x128_f8f6f4 v[220:223], a[104:111], a[248:255], 0// 000000009364: D3AD00DC 1A03F168
	ds_read_b128 a[152:155], v2 offset:4736                    // 00000000936C: DBFE1280 98000002
	ds_read_b128 a[156:159], v2 offset:4800                    // 000000009374: DBFE12C0 9C000002
	ds_read_b32 v27, v3 offset:27904                           // 00000000937C: D86C6D00 1B000003
	ds_read_b32 v28, v3 offset:28160                           // 000000009384: D86C6E00 1C000003
	s_waitcnt vmcnt(17)                                        // 00000000938C: BF8C4F71
	v_mfma_f32_16x16x128_f8f6f4 v[224:227], a[112:119], a[200:207], 0// 000000009390: D3AD00E0 1A039170
	v_mfma_f32_16x16x128_f8f6f4 v[228:231], a[112:119], a[216:223], 0// 000000009398: D3AD00E4 1A03B170
	ds_read_b128 a[160:163], v2 offset:18944                   // 0000000093A0: DBFE4A00 A0000002
	ds_read_b128 a[164:167], v2 offset:19008                   // 0000000093A8: DBFE4A40 A4000002
	v_mfma_f32_16x16x128_f8f6f4 v[232:235], a[112:119], a[232:239], 0// 0000000093B0: D3AD00E8 1A03D170
	v_mfma_f32_16x16x128_f8f6f4 v[236:239], a[112:119], a[248:255], 0// 0000000093B8: D3AD00EC 1A03F170
	ds_read_b128 a[168:171], v2 offset:23168                   // 0000000093C0: DBFE5A80 A8000002
	ds_read_b128 a[172:175], v2 offset:23232                   // 0000000093C8: DBFE5AC0 AC000002
	v_mfma_f32_16x16x128_f8f6f4 v[240:243], a[120:127], a[200:207], 0// 0000000093D0: D3AD00F0 1A039178
	v_mfma_f32_16x16x128_f8f6f4 v[244:247], a[120:127], a[216:223], 0// 0000000093D8: D3AD00F4 1A03B178
	ds_read_b128 a[176:179], v2 offset:19456                   // 0000000093E0: DBFE4C00 B0000002
	ds_read_b128 a[180:183], v2 offset:19520                   // 0000000093E8: DBFE4C40 B4000002
	v_mfma_f32_16x16x128_f8f6f4 v[248:251], a[120:127], a[232:239], 0// 0000000093F0: D3AD00F8 1A03D178
	v_mfma_f32_16x16x128_f8f6f4 v[252:255], a[120:127], a[248:255], 0// 0000000093F8: D3AD00FC 1A03F178
	ds_read_b128 a[184:187], v2 offset:23680                   // 000000009400: DBFE5C80 B8000002
	ds_read_b128 a[188:191], v2 offset:23744                   // 000000009408: DBFE5CC0 BC000002
	v_mul_f32_dpp v60, v38, v33 row_newbcast:2 row_mask:0xf bank_mask:0xf// 000000009410: 0A7842FA FF015226
	v_mov_b32_e32 v61, v60                                     // 000000009418: 7E7A033C
	v_pk_fma_f32 v[128:129], v[192:193], v[60:61], v[128:129]  // 00000000941C: D3B04080 1E0279C0
	v_pk_fma_f32 v[130:131], v[194:195], v[60:61], v[130:131]  // 000000009424: D3B04082 1E0A79C2
	v_pk_fma_f32 v[144:145], v[208:209], v[60:61], v[144:145]  // 00000000942C: D3B04090 1E4279D0
	v_pk_fma_f32 v[146:147], v[210:211], v[60:61], v[146:147]  // 000000009434: D3B04092 1E4A79D2
	v_mul_f32_dpp v60, v38, v33 row_newbcast:3 row_mask:0xf bank_mask:0xf// 00000000943C: 0A7842FA FF015326
	v_mov_b32_e32 v61, v60                                     // 000000009444: 7E7A033C
	v_pk_fma_f32 v[160:161], v[224:225], v[60:61], v[160:161]  // 000000009448: D3B040A0 1E8279E0
	v_pk_fma_f32 v[162:163], v[226:227], v[60:61], v[162:163]  // 000000009450: D3B040A2 1E8A79E2
	v_pk_fma_f32 v[176:177], v[240:241], v[60:61], v[176:177]  // 000000009458: D3B040B0 1EC279F0
	v_pk_fma_f32 v[178:179], v[242:243], v[60:61], v[178:179]  // 000000009460: D3B040B2 1ECA79F2
	v_mul_f32_dpp v60, v38, v34 row_newbcast:2 row_mask:0xf bank_mask:0xf// 000000009468: 0A7844FA FF015226
	v_mov_b32_e32 v61, v60                                     // 000000009470: 7E7A033C
	v_pk_fma_f32 v[132:133], v[196:197], v[60:61], v[132:133]  // 000000009474: D3B04084 1E1279C4
	v_pk_fma_f32 v[134:135], v[198:199], v[60:61], v[134:135]  // 00000000947C: D3B04086 1E1A79C6
	v_pk_fma_f32 v[148:149], v[212:213], v[60:61], v[148:149]  // 000000009484: D3B04094 1E5279D4
	v_pk_fma_f32 v[150:151], v[214:215], v[60:61], v[150:151]  // 00000000948C: D3B04096 1E5A79D6
	v_mul_f32_dpp v60, v38, v34 row_newbcast:3 row_mask:0xf bank_mask:0xf// 000000009494: 0A7844FA FF015326
	v_mov_b32_e32 v61, v60                                     // 00000000949C: 7E7A033C
	v_pk_fma_f32 v[164:165], v[228:229], v[60:61], v[164:165]  // 0000000094A0: D3B040A4 1E9279E4
	v_pk_fma_f32 v[166:167], v[230:231], v[60:61], v[166:167]  // 0000000094A8: D3B040A6 1E9A79E6
	v_pk_fma_f32 v[180:181], v[244:245], v[60:61], v[180:181]  // 0000000094B0: D3B040B4 1ED279F4
	v_pk_fma_f32 v[182:183], v[246:247], v[60:61], v[182:183]  // 0000000094B8: D3B040B6 1EDA79F6
	v_mul_f32_dpp v60, v38, v35 row_newbcast:2 row_mask:0xf bank_mask:0xf// 0000000094C0: 0A7846FA FF015226
	v_mov_b32_e32 v61, v60                                     // 0000000094C8: 7E7A033C
	v_pk_fma_f32 v[136:137], v[200:201], v[60:61], v[136:137]  // 0000000094CC: D3B04088 1E2279C8
	v_pk_fma_f32 v[138:139], v[202:203], v[60:61], v[138:139]  // 0000000094D4: D3B0408A 1E2A79CA
	v_pk_fma_f32 v[152:153], v[216:217], v[60:61], v[152:153]  // 0000000094DC: D3B04098 1E6279D8
	v_pk_fma_f32 v[154:155], v[218:219], v[60:61], v[154:155]  // 0000000094E4: D3B0409A 1E6A79DA
	v_mul_f32_dpp v60, v38, v35 row_newbcast:3 row_mask:0xf bank_mask:0xf// 0000000094EC: 0A7846FA FF015326
	v_mov_b32_e32 v61, v60                                     // 0000000094F4: 7E7A033C
	v_pk_fma_f32 v[168:169], v[232:233], v[60:61], v[168:169]  // 0000000094F8: D3B040A8 1EA279E8
	v_pk_fma_f32 v[170:171], v[234:235], v[60:61], v[170:171]  // 000000009500: D3B040AA 1EAA79EA
	v_pk_fma_f32 v[184:185], v[248:249], v[60:61], v[184:185]  // 000000009508: D3B040B8 1EE279F8
	v_pk_fma_f32 v[186:187], v[250:251], v[60:61], v[186:187]  // 000000009510: D3B040BA 1EEA79FA
	v_mul_f32_dpp v60, v38, v36 row_newbcast:2 row_mask:0xf bank_mask:0xf// 000000009518: 0A7848FA FF015226
	v_mov_b32_e32 v61, v60                                     // 000000009520: 7E7A033C
	v_pk_fma_f32 v[140:141], v[204:205], v[60:61], v[140:141]  // 000000009524: D3B0408C 1E3279CC
	v_pk_fma_f32 v[142:143], v[206:207], v[60:61], v[142:143]  // 00000000952C: D3B0408E 1E3A79CE
	v_pk_fma_f32 v[156:157], v[220:221], v[60:61], v[156:157]  // 000000009534: D3B0409C 1E7279DC
	v_pk_fma_f32 v[158:159], v[222:223], v[60:61], v[158:159]  // 00000000953C: D3B0409E 1E7A79DE
	v_mul_f32_dpp v60, v38, v36 row_newbcast:3 row_mask:0xf bank_mask:0xf// 000000009544: 0A7848FA FF015326
	v_mov_b32_e32 v61, v60                                     // 00000000954C: 7E7A033C
	v_pk_fma_f32 v[172:173], v[236:237], v[60:61], v[172:173]  // 000000009550: D3B040AC 1EB279EC
	v_pk_fma_f32 v[174:175], v[238:239], v[60:61], v[174:175]  // 000000009558: D3B040AE 1EBA79EE
	v_pk_fma_f32 v[188:189], v[252:253], v[60:61], v[188:189]  // 000000009560: D3B040BC 1EF279FC
	v_pk_fma_f32 v[190:191], v[254:255], v[60:61], v[190:191]  // 000000009568: D3B040BE 1EFA79FE
	s_add_u32 s56, 0x200, s76                                  // 000000009570: 80384CFF 00000200
	s_cmp_lt_u32 s56, s77                                      // 000000009578: BF0A4D38
	s_cselect_b32 s53, s53, 0                                  // 00000000957C: 85358035
	s_cselect_b32 s3, s3, 0                                    // 000000009580: 85038003
	s_add_u32 s56, 0x200, s76                                  // 000000009584: 80384CFF 00000200
	s_cmp_lt_u32 s56, s77                                      // 00000000958C: BF0A4D38
	s_cselect_b32 s54, s54, 0                                  // 000000009590: 85368036
	s_add_u32 s20, s53, s20                                    // 000000009594: 80141435
	s_addc_u32 s21, 0, s21                                     // 000000009598: 82151580
	s_add_u32 s28, s3, s28                                     // 00000000959C: 801C1C03
	s_addc_u32 s29, 0, s29                                     // 0000000095A0: 821D1D80
	s_add_u32 s24, s54, s24                                    // 0000000095A4: 80181836
	s_addc_u32 s25, 0, s25                                     // 0000000095A8: 82191980
	s_add_u32 s96, s94, s96                                    // 0000000095AC: 8060605E
	s_addc_u32 s97, 0, s97                                     // 0000000095B0: 82616180
	s_addk_i32 s76, 0x100                                      // 0000000095B4: B74C0100
	s_cmp_lt_i32 s76, s77                                      // 0000000095B8: BF044D4C
	s_cbranch_scc0 label_19F1                                  // 0000000095BC: BF840001
	s_branch label_14D2                                        // 0000000095C0: BF82FAE1

00000000000095c4 <label_19F1>:
	s_mov_b32 s20, 0                                           // 0000000095C4: BE940080
	s_cmp_lt_u32 s93, s62                                      // 0000000095C8: BF0A3E5D
	s_cselect_b32 s56, 0, 1                                    // 0000000095CC: 85388180
	s_lshl1_add_u32 s20, s20, s56                              // 0000000095D0: 97143814
	s_cmp_lt_u32 s92, s62                                      // 0000000095D4: BF0A3E5C
	s_cselect_b32 s56, 0, 1                                    // 0000000095D8: 85388180
	s_lshl1_add_u32 s20, s20, s56                              // 0000000095DC: 97143814
	s_cmp_lt_u32 s91, s62                                      // 0000000095E0: BF0A3E5B
	s_cselect_b32 s56, 0, 1                                    // 0000000095E4: 85388180
	s_lshl1_add_u32 s20, s20, s56                              // 0000000095E8: 97143814
	s_cmp_lt_u32 s90, s62                                      // 0000000095EC: BF0A3E5A
	s_cselect_b32 s56, 0, 1                                    // 0000000095F0: 85388180
	s_lshl1_add_u32 s20, s20, s56                              // 0000000095F4: 97143814
	s_cmp_lt_u32 s89, s62                                      // 0000000095F8: BF0A3E59
	s_cselect_b32 s56, 0, 1                                    // 0000000095FC: 85388180
	s_lshl1_add_u32 s20, s20, s56                              // 000000009600: 97143814
	s_cmp_lt_u32 s88, s62                                      // 000000009604: BF0A3E58
	s_cselect_b32 s56, 0, 1                                    // 000000009608: 85388180
	s_lshl1_add_u32 s20, s20, s56                              // 00000000960C: 97143814
	s_cmp_lt_u32 s87, s62                                      // 000000009610: BF0A3E57
	s_cselect_b32 s56, 0, 1                                    // 000000009614: 85388180
	s_lshl1_add_u32 s20, s20, s56                              // 000000009618: 97143814
	s_cmp_lt_u32 s86, s62                                      // 00000000961C: BF0A3E56
	s_cselect_b32 s56, 0, 1                                    // 000000009620: 85388180
	s_lshl1_add_u32 s20, s20, s56                              // 000000009624: 97143814
	s_cmp_lt_u32 s85, s62                                      // 000000009628: BF0A3E55
	s_cselect_b32 s56, 0, 1                                    // 00000000962C: 85388180
	s_lshl1_add_u32 s20, s20, s56                              // 000000009630: 97143814
	s_cmp_lt_u32 s84, s62                                      // 000000009634: BF0A3E54
	s_cselect_b32 s56, 0, 1                                    // 000000009638: 85388180
	s_lshl1_add_u32 s20, s20, s56                              // 00000000963C: 97143814
	s_cmp_lt_u32 s83, s62                                      // 000000009640: BF0A3E53
	s_cselect_b32 s56, 0, 1                                    // 000000009644: 85388180
	s_lshl1_add_u32 s20, s20, s56                              // 000000009648: 97143814
	s_cmp_lt_u32 s82, s62                                      // 00000000964C: BF0A3E52
	s_cselect_b32 s56, 0, 1                                    // 000000009650: 85388180
	s_lshl1_add_u32 s20, s20, s56                              // 000000009654: 97143814
	s_cmp_lt_u32 s81, s62                                      // 000000009658: BF0A3E51
	s_cselect_b32 s56, 0, 1                                    // 00000000965C: 85388180
	s_lshl1_add_u32 s20, s20, s56                              // 000000009660: 97143814
	s_cmp_lt_u32 s80, s62                                      // 000000009664: BF0A3E50
	s_cselect_b32 s56, 0, 1                                    // 000000009668: 85388180
	s_lshl1_add_u32 s20, s20, s56                              // 00000000966C: 97143814
	s_cmp_lt_u32 s79, s62                                      // 000000009670: BF0A3E4F
	s_cselect_b32 s56, 0, 1                                    // 000000009674: 85388180
	s_lshl1_add_u32 s20, s20, s56                              // 000000009678: 97143814
	s_cmp_lt_u32 s78, s62                                      // 00000000967C: BF0A3E4E
	s_cselect_b32 s56, 0, 1                                    // 000000009680: 85388180
	s_lshl1_add_u32 s20, s20, s56                              // 000000009684: 97143814
	s_waitcnt vmcnt(12)                                        // 000000009688: BF8C0F7C
	buffer_load_dwordx4 a[0:3], v51, s[12:15], 0 offen         // 00000000968C: E05C1000 80830033
	v_mul_f32_e32 v60, v64, v64                                // 000000009694: 0A788140
	v_mul_f32_e32 v61, v65, v65                                // 000000009698: 0A7A8341
	v_mul_f32_e32 v62, v66, v66                                // 00000000969C: 0A7C8542
	v_mul_f32_e32 v63, v67, v67                                // 0000000096A0: 0A7E8743
	s_mov_b32 s3, 0xbd92220c                                   // 0000000096A4: BE8300FF BD92220C
	v_fma_f32 v60, v60, s3, v1                                 // 0000000096AC: D1CB003C 0404073C
	v_fma_f32 v61, v61, s3, v1                                 // 0000000096B4: D1CB003D 0404073D
	v_fma_f32 v62, v62, s3, v1                                 // 0000000096BC: D1CB003E 0404073E
	v_fma_f32 v63, v63, s3, v1                                 // 0000000096C4: D1CB003F 0404073F
	v_mul_f32_e32 v60, v60, v64                                // 0000000096CC: 0A78813C
	v_mul_f32_e32 v61, v61, v65                                // 0000000096D0: 0A7A833D
	v_mul_f32_e32 v62, v62, v66                                // 0000000096D4: 0A7C853E
	v_mul_f32_e32 v63, v63, v67                                // 0000000096D8: 0A7E873F
	v_mul_f32_e64 v60, v60, s6                                 // 0000000096DC: D105003C 00000D3C
	v_mul_f32_e64 v61, v61, s6                                 // 0000000096E4: D105003D 00000D3D
	v_mul_f32_e64 v62, v62, s6                                 // 0000000096EC: D105003E 00000D3E
	v_mul_f32_e64 v63, v63, s6                                 // 0000000096F4: D105003F 00000D3F
	v_exp_f32_e32 v60, v60                                     // 0000000096FC: 7E78413C
	v_exp_f32_e32 v61, v61                                     // 000000009700: 7E7A413D
	v_exp_f32_e32 v62, v62                                     // 000000009704: 7E7C413E
	v_exp_f32_e32 v63, v63                                     // 000000009708: 7E7E413F
	buffer_load_dwordx4 a[4:7], v51, s[12:15], 0 offen offset:1024// 00000000970C: E05C1400 80830433
	v_add_f32_e64 v60, v60, 1.0                                // 000000009714: D101003C 0001E53C
	v_add_f32_e64 v61, v61, 1.0                                // 00000000971C: D101003D 0001E53D
	v_add_f32_e64 v62, v62, 1.0                                // 000000009724: D101003E 0001E53E
	v_add_f32_e64 v63, v63, 1.0                                // 00000000972C: D101003F 0001E53F
	v_rcp_f32_e32 v60, v60                                     // 000000009734: 7E78453C
	v_rcp_f32_e32 v61, v61                                     // 000000009738: 7E7A453D
	v_rcp_f32_e32 v62, v62                                     // 00000000973C: 7E7C453E
	v_rcp_f32_e32 v63, v63                                     // 000000009740: 7E7E453F
	v_mul_f32_e32 v64, v64, v60                                // 000000009744: 0A807940
	v_mul_f32_e32 v65, v65, v61                                // 000000009748: 0A827B41
	v_mul_f32_e32 v66, v66, v62                                // 00000000974C: 0A847D42
	v_mul_f32_e32 v67, v67, v63                                // 000000009750: 0A867F43
	v_mul_f32_e32 v64, v64, v128                               // 000000009754: 0A810140
	v_mul_f32_e32 v65, v65, v129                               // 000000009758: 0A830341
	v_mul_f32_e32 v66, v66, v130                               // 00000000975C: 0A850542
	v_mul_f32_e32 v67, v67, v131                               // 000000009760: 0A870743
	buffer_load_dwordx4 a[8:11], v52, s[12:15], 0 offen        // 000000009764: E05C1000 80830834
	v_mul_f32_e32 v60, v68, v68                                // 00000000976C: 0A788944
	v_mul_f32_e32 v61, v69, v69                                // 000000009770: 0A7A8B45
	v_mul_f32_e32 v62, v70, v70                                // 000000009774: 0A7C8D46
	v_mul_f32_e32 v63, v71, v71                                // 000000009778: 0A7E8F47
	s_mov_b32 s3, 0xbd92220c                                   // 00000000977C: BE8300FF BD92220C
	v_fma_f32 v60, v60, s3, v1                                 // 000000009784: D1CB003C 0404073C
	v_fma_f32 v61, v61, s3, v1                                 // 00000000978C: D1CB003D 0404073D
	v_fma_f32 v62, v62, s3, v1                                 // 000000009794: D1CB003E 0404073E
	v_fma_f32 v63, v63, s3, v1                                 // 00000000979C: D1CB003F 0404073F
	v_mul_f32_e32 v60, v60, v68                                // 0000000097A4: 0A78893C
	v_mul_f32_e32 v61, v61, v69                                // 0000000097A8: 0A7A8B3D
	v_mul_f32_e32 v62, v62, v70                                // 0000000097AC: 0A7C8D3E
	v_mul_f32_e32 v63, v63, v71                                // 0000000097B0: 0A7E8F3F
	v_mul_f32_e64 v60, v60, s6                                 // 0000000097B4: D105003C 00000D3C
	v_mul_f32_e64 v61, v61, s6                                 // 0000000097BC: D105003D 00000D3D
	v_mul_f32_e64 v62, v62, s6                                 // 0000000097C4: D105003E 00000D3E
	v_mul_f32_e64 v63, v63, s6                                 // 0000000097CC: D105003F 00000D3F
	v_exp_f32_e32 v60, v60                                     // 0000000097D4: 7E78413C
	v_exp_f32_e32 v61, v61                                     // 0000000097D8: 7E7A413D
	v_exp_f32_e32 v62, v62                                     // 0000000097DC: 7E7C413E
	v_exp_f32_e32 v63, v63                                     // 0000000097E0: 7E7E413F
	buffer_load_dwordx4 a[12:15], v52, s[12:15], 0 offen offset:1024// 0000000097E4: E05C1400 80830C34
	v_add_f32_e64 v60, v60, 1.0                                // 0000000097EC: D101003C 0001E53C
	v_add_f32_e64 v61, v61, 1.0                                // 0000000097F4: D101003D 0001E53D
	v_add_f32_e64 v62, v62, 1.0                                // 0000000097FC: D101003E 0001E53E
	v_add_f32_e64 v63, v63, 1.0                                // 000000009804: D101003F 0001E53F
	v_rcp_f32_e32 v60, v60                                     // 00000000980C: 7E78453C
	v_rcp_f32_e32 v61, v61                                     // 000000009810: 7E7A453D
	v_rcp_f32_e32 v62, v62                                     // 000000009814: 7E7C453E
	v_rcp_f32_e32 v63, v63                                     // 000000009818: 7E7E453F
	v_mul_f32_e32 v68, v68, v60                                // 00000000981C: 0A887944
	v_mul_f32_e32 v69, v69, v61                                // 000000009820: 0A8A7B45
	v_mul_f32_e32 v70, v70, v62                                // 000000009824: 0A8C7D46
	v_mul_f32_e32 v71, v71, v63                                // 000000009828: 0A8E7F47
	v_mul_f32_e32 v68, v68, v132                               // 00000000982C: 0A890944
	v_mul_f32_e32 v69, v69, v133                               // 000000009830: 0A8B0B45
	v_mul_f32_e32 v70, v70, v134                               // 000000009834: 0A8D0D46
	v_mul_f32_e32 v71, v71, v135                               // 000000009838: 0A8F0F47
	s_waitcnt vmcnt(12)                                        // 00000000983C: BF8C0F7C
	buffer_load_dwordx4 a[16:19], v53, s[12:15], 0 offen       // 000000009840: E05C1000 80831035
	v_mul_f32_e32 v60, v72, v72                                // 000000009848: 0A789148
	v_mul_f32_e32 v61, v73, v73                                // 00000000984C: 0A7A9349
	v_mul_f32_e32 v62, v74, v74                                // 000000009850: 0A7C954A
	v_mul_f32_e32 v63, v75, v75                                // 000000009854: 0A7E974B
	s_mov_b32 s3, 0xbd92220c                                   // 000000009858: BE8300FF BD92220C
	v_fma_f32 v60, v60, s3, v1                                 // 000000009860: D1CB003C 0404073C
	v_fma_f32 v61, v61, s3, v1                                 // 000000009868: D1CB003D 0404073D
	v_fma_f32 v62, v62, s3, v1                                 // 000000009870: D1CB003E 0404073E
	v_fma_f32 v63, v63, s3, v1                                 // 000000009878: D1CB003F 0404073F
	v_mul_f32_e32 v60, v60, v72                                // 000000009880: 0A78913C
	v_mul_f32_e32 v61, v61, v73                                // 000000009884: 0A7A933D
	v_mul_f32_e32 v62, v62, v74                                // 000000009888: 0A7C953E
	v_mul_f32_e32 v63, v63, v75                                // 00000000988C: 0A7E973F
	v_mul_f32_e64 v60, v60, s6                                 // 000000009890: D105003C 00000D3C
	v_mul_f32_e64 v61, v61, s6                                 // 000000009898: D105003D 00000D3D
	v_mul_f32_e64 v62, v62, s6                                 // 0000000098A0: D105003E 00000D3E
	v_mul_f32_e64 v63, v63, s6                                 // 0000000098A8: D105003F 00000D3F
	v_exp_f32_e32 v60, v60                                     // 0000000098B0: 7E78413C
	v_exp_f32_e32 v61, v61                                     // 0000000098B4: 7E7A413D
	v_exp_f32_e32 v62, v62                                     // 0000000098B8: 7E7C413E
	v_exp_f32_e32 v63, v63                                     // 0000000098BC: 7E7E413F
	buffer_load_dwordx4 a[20:23], v53, s[12:15], 0 offen offset:1024// 0000000098C0: E05C1400 80831435
	v_add_f32_e64 v60, v60, 1.0                                // 0000000098C8: D101003C 0001E53C
	v_add_f32_e64 v61, v61, 1.0                                // 0000000098D0: D101003D 0001E53D
	v_add_f32_e64 v62, v62, 1.0                                // 0000000098D8: D101003E 0001E53E
	v_add_f32_e64 v63, v63, 1.0                                // 0000000098E0: D101003F 0001E53F
	v_rcp_f32_e32 v60, v60                                     // 0000000098E8: 7E78453C
	v_rcp_f32_e32 v61, v61                                     // 0000000098EC: 7E7A453D
	v_rcp_f32_e32 v62, v62                                     // 0000000098F0: 7E7C453E
	v_rcp_f32_e32 v63, v63                                     // 0000000098F4: 7E7E453F
	v_mul_f32_e32 v72, v72, v60                                // 0000000098F8: 0A907948
	v_mul_f32_e32 v73, v73, v61                                // 0000000098FC: 0A927B49
	v_mul_f32_e32 v74, v74, v62                                // 000000009900: 0A947D4A
	v_mul_f32_e32 v75, v75, v63                                // 000000009904: 0A967F4B
	v_mul_f32_e32 v72, v72, v136                               // 000000009908: 0A911148
	v_mul_f32_e32 v73, v73, v137                               // 00000000990C: 0A931349
	v_mul_f32_e32 v74, v74, v138                               // 000000009910: 0A95154A
	v_mul_f32_e32 v75, v75, v139                               // 000000009914: 0A97174B
	buffer_load_dwordx4 a[24:27], v54, s[12:15], 0 offen       // 000000009918: E05C1000 80831836
	v_mul_f32_e32 v60, v76, v76                                // 000000009920: 0A78994C
	v_mul_f32_e32 v61, v77, v77                                // 000000009924: 0A7A9B4D
	v_mul_f32_e32 v62, v78, v78                                // 000000009928: 0A7C9D4E
	v_mul_f32_e32 v63, v79, v79                                // 00000000992C: 0A7E9F4F
	s_mov_b32 s3, 0xbd92220c                                   // 000000009930: BE8300FF BD92220C
	v_fma_f32 v60, v60, s3, v1                                 // 000000009938: D1CB003C 0404073C
	v_fma_f32 v61, v61, s3, v1                                 // 000000009940: D1CB003D 0404073D
	v_fma_f32 v62, v62, s3, v1                                 // 000000009948: D1CB003E 0404073E
	v_fma_f32 v63, v63, s3, v1                                 // 000000009950: D1CB003F 0404073F
	v_mul_f32_e32 v60, v60, v76                                // 000000009958: 0A78993C
	v_mul_f32_e32 v61, v61, v77                                // 00000000995C: 0A7A9B3D
	v_mul_f32_e32 v62, v62, v78                                // 000000009960: 0A7C9D3E
	v_mul_f32_e32 v63, v63, v79                                // 000000009964: 0A7E9F3F
	v_mul_f32_e64 v60, v60, s6                                 // 000000009968: D105003C 00000D3C
	v_mul_f32_e64 v61, v61, s6                                 // 000000009970: D105003D 00000D3D
	v_mul_f32_e64 v62, v62, s6                                 // 000000009978: D105003E 00000D3E
	v_mul_f32_e64 v63, v63, s6                                 // 000000009980: D105003F 00000D3F
	v_exp_f32_e32 v60, v60                                     // 000000009988: 7E78413C
	v_exp_f32_e32 v61, v61                                     // 00000000998C: 7E7A413D
	v_exp_f32_e32 v62, v62                                     // 000000009990: 7E7C413E
	v_exp_f32_e32 v63, v63                                     // 000000009994: 7E7E413F
	buffer_load_dwordx4 a[28:31], v54, s[12:15], 0 offen offset:1024// 000000009998: E05C1400 80831C36
	s_add_u32 s12, s74, s12                                    // 0000000099A0: 800C0C4A
	s_addc_u32 s13, 0, s13                                     // 0000000099A4: 820D0D80
	v_add_f32_e64 v60, v60, 1.0                                // 0000000099A8: D101003C 0001E53C
	v_add_f32_e64 v61, v61, 1.0                                // 0000000099B0: D101003D 0001E53D
	v_add_f32_e64 v62, v62, 1.0                                // 0000000099B8: D101003E 0001E53E
	v_add_f32_e64 v63, v63, 1.0                                // 0000000099C0: D101003F 0001E53F
	v_rcp_f32_e32 v60, v60                                     // 0000000099C8: 7E78453C
	v_rcp_f32_e32 v61, v61                                     // 0000000099CC: 7E7A453D
	v_rcp_f32_e32 v62, v62                                     // 0000000099D0: 7E7C453E
	v_rcp_f32_e32 v63, v63                                     // 0000000099D4: 7E7E453F
	v_mul_f32_e32 v76, v76, v60                                // 0000000099D8: 0A98794C
	v_mul_f32_e32 v77, v77, v61                                // 0000000099DC: 0A9A7B4D
	v_mul_f32_e32 v78, v78, v62                                // 0000000099E0: 0A9C7D4E
	v_mul_f32_e32 v79, v79, v63                                // 0000000099E4: 0A9E7F4F
	v_mul_f32_e32 v76, v76, v140                               // 0000000099E8: 0A99194C
	v_mul_f32_e32 v77, v77, v141                               // 0000000099EC: 0A9B1B4D
	v_mul_f32_e32 v78, v78, v142                               // 0000000099F0: 0A9D1D4E
	v_mul_f32_e32 v79, v79, v143                               // 0000000099F4: 0A9F1F4F
	s_waitcnt vmcnt(12)                                        // 0000000099F8: BF8C0F7C
	buffer_load_dwordx4 a[32:35], v51, s[12:15], 0 offen       // 0000000099FC: E05C1000 80832033
	v_mul_f32_e32 v60, v80, v80                                // 000000009A04: 0A78A150
	v_mul_f32_e32 v61, v81, v81                                // 000000009A08: 0A7AA351
	v_mul_f32_e32 v62, v82, v82                                // 000000009A0C: 0A7CA552
	v_mul_f32_e32 v63, v83, v83                                // 000000009A10: 0A7EA753
	s_mov_b32 s3, 0xbd92220c                                   // 000000009A14: BE8300FF BD92220C
	v_fma_f32 v60, v60, s3, v1                                 // 000000009A1C: D1CB003C 0404073C
	v_fma_f32 v61, v61, s3, v1                                 // 000000009A24: D1CB003D 0404073D
	v_fma_f32 v62, v62, s3, v1                                 // 000000009A2C: D1CB003E 0404073E
	v_fma_f32 v63, v63, s3, v1                                 // 000000009A34: D1CB003F 0404073F
	v_mul_f32_e32 v60, v60, v80                                // 000000009A3C: 0A78A13C
	v_mul_f32_e32 v61, v61, v81                                // 000000009A40: 0A7AA33D
	v_mul_f32_e32 v62, v62, v82                                // 000000009A44: 0A7CA53E
	v_mul_f32_e32 v63, v63, v83                                // 000000009A48: 0A7EA73F
	v_mul_f32_e64 v60, v60, s6                                 // 000000009A4C: D105003C 00000D3C
	v_mul_f32_e64 v61, v61, s6                                 // 000000009A54: D105003D 00000D3D
	v_mul_f32_e64 v62, v62, s6                                 // 000000009A5C: D105003E 00000D3E
	v_mul_f32_e64 v63, v63, s6                                 // 000000009A64: D105003F 00000D3F
	v_exp_f32_e32 v60, v60                                     // 000000009A6C: 7E78413C
	v_exp_f32_e32 v61, v61                                     // 000000009A70: 7E7A413D
	v_exp_f32_e32 v62, v62                                     // 000000009A74: 7E7C413E
	v_exp_f32_e32 v63, v63                                     // 000000009A78: 7E7E413F
	buffer_load_dwordx4 a[36:39], v51, s[12:15], 0 offen offset:1024// 000000009A7C: E05C1400 80832433
	v_add_f32_e64 v60, v60, 1.0                                // 000000009A84: D101003C 0001E53C
	v_add_f32_e64 v61, v61, 1.0                                // 000000009A8C: D101003D 0001E53D
	v_add_f32_e64 v62, v62, 1.0                                // 000000009A94: D101003E 0001E53E
	v_add_f32_e64 v63, v63, 1.0                                // 000000009A9C: D101003F 0001E53F
	v_rcp_f32_e32 v60, v60                                     // 000000009AA4: 7E78453C
	v_rcp_f32_e32 v61, v61                                     // 000000009AA8: 7E7A453D
	v_rcp_f32_e32 v62, v62                                     // 000000009AAC: 7E7C453E
	v_rcp_f32_e32 v63, v63                                     // 000000009AB0: 7E7E453F
	v_mul_f32_e32 v80, v80, v60                                // 000000009AB4: 0AA07950
	v_mul_f32_e32 v81, v81, v61                                // 000000009AB8: 0AA27B51
	v_mul_f32_e32 v82, v82, v62                                // 000000009ABC: 0AA47D52
	v_mul_f32_e32 v83, v83, v63                                // 000000009AC0: 0AA67F53
	v_mul_f32_e32 v80, v80, v144                               // 000000009AC4: 0AA12150
	v_mul_f32_e32 v81, v81, v145                               // 000000009AC8: 0AA32351
	v_mul_f32_e32 v82, v82, v146                               // 000000009ACC: 0AA52552
	v_mul_f32_e32 v83, v83, v147                               // 000000009AD0: 0AA72753
	buffer_load_dwordx4 a[40:43], v52, s[12:15], 0 offen       // 000000009AD4: E05C1000 80832834
	v_mul_f32_e32 v60, v84, v84                                // 000000009ADC: 0A78A954
	v_mul_f32_e32 v61, v85, v85                                // 000000009AE0: 0A7AAB55
	v_mul_f32_e32 v62, v86, v86                                // 000000009AE4: 0A7CAD56
	v_mul_f32_e32 v63, v87, v87                                // 000000009AE8: 0A7EAF57
	s_mov_b32 s3, 0xbd92220c                                   // 000000009AEC: BE8300FF BD92220C
	v_fma_f32 v60, v60, s3, v1                                 // 000000009AF4: D1CB003C 0404073C
	v_fma_f32 v61, v61, s3, v1                                 // 000000009AFC: D1CB003D 0404073D
	v_fma_f32 v62, v62, s3, v1                                 // 000000009B04: D1CB003E 0404073E
	v_fma_f32 v63, v63, s3, v1                                 // 000000009B0C: D1CB003F 0404073F
	v_mul_f32_e32 v60, v60, v84                                // 000000009B14: 0A78A93C
	v_mul_f32_e32 v61, v61, v85                                // 000000009B18: 0A7AAB3D
	v_mul_f32_e32 v62, v62, v86                                // 000000009B1C: 0A7CAD3E
	v_mul_f32_e32 v63, v63, v87                                // 000000009B20: 0A7EAF3F
	v_mul_f32_e64 v60, v60, s6                                 // 000000009B24: D105003C 00000D3C
	v_mul_f32_e64 v61, v61, s6                                 // 000000009B2C: D105003D 00000D3D
	v_mul_f32_e64 v62, v62, s6                                 // 000000009B34: D105003E 00000D3E
	v_mul_f32_e64 v63, v63, s6                                 // 000000009B3C: D105003F 00000D3F
	v_exp_f32_e32 v60, v60                                     // 000000009B44: 7E78413C
	v_exp_f32_e32 v61, v61                                     // 000000009B48: 7E7A413D
	v_exp_f32_e32 v62, v62                                     // 000000009B4C: 7E7C413E
	v_exp_f32_e32 v63, v63                                     // 000000009B50: 7E7E413F
	buffer_load_dwordx4 a[44:47], v52, s[12:15], 0 offen offset:1024// 000000009B54: E05C1400 80832C34
	v_add_f32_e64 v60, v60, 1.0                                // 000000009B5C: D101003C 0001E53C
	v_add_f32_e64 v61, v61, 1.0                                // 000000009B64: D101003D 0001E53D
	v_add_f32_e64 v62, v62, 1.0                                // 000000009B6C: D101003E 0001E53E
	v_add_f32_e64 v63, v63, 1.0                                // 000000009B74: D101003F 0001E53F
	v_rcp_f32_e32 v60, v60                                     // 000000009B7C: 7E78453C
	v_rcp_f32_e32 v61, v61                                     // 000000009B80: 7E7A453D
	v_rcp_f32_e32 v62, v62                                     // 000000009B84: 7E7C453E
	v_rcp_f32_e32 v63, v63                                     // 000000009B88: 7E7E453F
	v_mul_f32_e32 v84, v84, v60                                // 000000009B8C: 0AA87954
	v_mul_f32_e32 v85, v85, v61                                // 000000009B90: 0AAA7B55
	v_mul_f32_e32 v86, v86, v62                                // 000000009B94: 0AAC7D56
	v_mul_f32_e32 v87, v87, v63                                // 000000009B98: 0AAE7F57
	v_mul_f32_e32 v84, v84, v148                               // 000000009B9C: 0AA92954
	v_mul_f32_e32 v85, v85, v149                               // 000000009BA0: 0AAB2B55
	v_mul_f32_e32 v86, v86, v150                               // 000000009BA4: 0AAD2D56
	v_mul_f32_e32 v87, v87, v151                               // 000000009BA8: 0AAF2F57
	s_waitcnt vmcnt(12)                                        // 000000009BAC: BF8C0F7C
	buffer_load_dwordx4 a[48:51], v53, s[12:15], 0 offen       // 000000009BB0: E05C1000 80833035
	v_mul_f32_e32 v60, v88, v88                                // 000000009BB8: 0A78B158
	v_mul_f32_e32 v61, v89, v89                                // 000000009BBC: 0A7AB359
	v_mul_f32_e32 v62, v90, v90                                // 000000009BC0: 0A7CB55A
	v_mul_f32_e32 v63, v91, v91                                // 000000009BC4: 0A7EB75B
	s_mov_b32 s3, 0xbd92220c                                   // 000000009BC8: BE8300FF BD92220C
	v_fma_f32 v60, v60, s3, v1                                 // 000000009BD0: D1CB003C 0404073C
	v_fma_f32 v61, v61, s3, v1                                 // 000000009BD8: D1CB003D 0404073D
	v_fma_f32 v62, v62, s3, v1                                 // 000000009BE0: D1CB003E 0404073E
	v_fma_f32 v63, v63, s3, v1                                 // 000000009BE8: D1CB003F 0404073F
	v_mul_f32_e32 v60, v60, v88                                // 000000009BF0: 0A78B13C
	v_mul_f32_e32 v61, v61, v89                                // 000000009BF4: 0A7AB33D
	v_mul_f32_e32 v62, v62, v90                                // 000000009BF8: 0A7CB53E
	v_mul_f32_e32 v63, v63, v91                                // 000000009BFC: 0A7EB73F
	v_mul_f32_e64 v60, v60, s6                                 // 000000009C00: D105003C 00000D3C
	v_mul_f32_e64 v61, v61, s6                                 // 000000009C08: D105003D 00000D3D
	v_mul_f32_e64 v62, v62, s6                                 // 000000009C10: D105003E 00000D3E
	v_mul_f32_e64 v63, v63, s6                                 // 000000009C18: D105003F 00000D3F
	v_exp_f32_e32 v60, v60                                     // 000000009C20: 7E78413C
	v_exp_f32_e32 v61, v61                                     // 000000009C24: 7E7A413D
	v_exp_f32_e32 v62, v62                                     // 000000009C28: 7E7C413E
	v_exp_f32_e32 v63, v63                                     // 000000009C2C: 7E7E413F
	buffer_load_dwordx4 a[52:55], v53, s[12:15], 0 offen offset:1024// 000000009C30: E05C1400 80833435
	v_add_f32_e64 v60, v60, 1.0                                // 000000009C38: D101003C 0001E53C
	v_add_f32_e64 v61, v61, 1.0                                // 000000009C40: D101003D 0001E53D
	v_add_f32_e64 v62, v62, 1.0                                // 000000009C48: D101003E 0001E53E
	v_add_f32_e64 v63, v63, 1.0                                // 000000009C50: D101003F 0001E53F
	v_rcp_f32_e32 v60, v60                                     // 000000009C58: 7E78453C
	v_rcp_f32_e32 v61, v61                                     // 000000009C5C: 7E7A453D
	v_rcp_f32_e32 v62, v62                                     // 000000009C60: 7E7C453E
	v_rcp_f32_e32 v63, v63                                     // 000000009C64: 7E7E453F
	v_mul_f32_e32 v88, v88, v60                                // 000000009C68: 0AB07958
	v_mul_f32_e32 v89, v89, v61                                // 000000009C6C: 0AB27B59
	v_mul_f32_e32 v90, v90, v62                                // 000000009C70: 0AB47D5A
	v_mul_f32_e32 v91, v91, v63                                // 000000009C74: 0AB67F5B
	v_mul_f32_e32 v88, v88, v152                               // 000000009C78: 0AB13158
	v_mul_f32_e32 v89, v89, v153                               // 000000009C7C: 0AB33359
	v_mul_f32_e32 v90, v90, v154                               // 000000009C80: 0AB5355A
	v_mul_f32_e32 v91, v91, v155                               // 000000009C84: 0AB7375B
	buffer_load_dwordx4 a[56:59], v54, s[12:15], 0 offen       // 000000009C88: E05C1000 80833836
	v_mul_f32_e32 v60, v92, v92                                // 000000009C90: 0A78B95C
	v_mul_f32_e32 v61, v93, v93                                // 000000009C94: 0A7ABB5D
	v_mul_f32_e32 v62, v94, v94                                // 000000009C98: 0A7CBD5E
	v_mul_f32_e32 v63, v95, v95                                // 000000009C9C: 0A7EBF5F
	s_mov_b32 s3, 0xbd92220c                                   // 000000009CA0: BE8300FF BD92220C
	v_fma_f32 v60, v60, s3, v1                                 // 000000009CA8: D1CB003C 0404073C
	v_fma_f32 v61, v61, s3, v1                                 // 000000009CB0: D1CB003D 0404073D
	v_fma_f32 v62, v62, s3, v1                                 // 000000009CB8: D1CB003E 0404073E
	v_fma_f32 v63, v63, s3, v1                                 // 000000009CC0: D1CB003F 0404073F
	v_mul_f32_e32 v60, v60, v92                                // 000000009CC8: 0A78B93C
	v_mul_f32_e32 v61, v61, v93                                // 000000009CCC: 0A7ABB3D
	v_mul_f32_e32 v62, v62, v94                                // 000000009CD0: 0A7CBD3E
	v_mul_f32_e32 v63, v63, v95                                // 000000009CD4: 0A7EBF3F
	v_mul_f32_e64 v60, v60, s6                                 // 000000009CD8: D105003C 00000D3C
	v_mul_f32_e64 v61, v61, s6                                 // 000000009CE0: D105003D 00000D3D
	v_mul_f32_e64 v62, v62, s6                                 // 000000009CE8: D105003E 00000D3E
	v_mul_f32_e64 v63, v63, s6                                 // 000000009CF0: D105003F 00000D3F
	v_exp_f32_e32 v60, v60                                     // 000000009CF8: 7E78413C
	v_exp_f32_e32 v61, v61                                     // 000000009CFC: 7E7A413D
	v_exp_f32_e32 v62, v62                                     // 000000009D00: 7E7C413E
	v_exp_f32_e32 v63, v63                                     // 000000009D04: 7E7E413F
	buffer_load_dwordx4 a[60:63], v54, s[12:15], 0 offen offset:1024// 000000009D08: E05C1400 80833C36
	v_add_f32_e64 v60, v60, 1.0                                // 000000009D10: D101003C 0001E53C
	v_add_f32_e64 v61, v61, 1.0                                // 000000009D18: D101003D 0001E53D
	v_add_f32_e64 v62, v62, 1.0                                // 000000009D20: D101003E 0001E53E
	v_add_f32_e64 v63, v63, 1.0                                // 000000009D28: D101003F 0001E53F
	v_rcp_f32_e32 v60, v60                                     // 000000009D30: 7E78453C
	v_rcp_f32_e32 v61, v61                                     // 000000009D34: 7E7A453D
	v_rcp_f32_e32 v62, v62                                     // 000000009D38: 7E7C453E
	v_rcp_f32_e32 v63, v63                                     // 000000009D3C: 7E7E453F
	v_mul_f32_e32 v92, v92, v60                                // 000000009D40: 0AB8795C
	v_mul_f32_e32 v93, v93, v61                                // 000000009D44: 0ABA7B5D
	v_mul_f32_e32 v94, v94, v62                                // 000000009D48: 0ABC7D5E
	v_mul_f32_e32 v95, v95, v63                                // 000000009D4C: 0ABE7F5F
	v_mul_f32_e32 v92, v92, v156                               // 000000009D50: 0AB9395C
	v_mul_f32_e32 v93, v93, v157                               // 000000009D54: 0ABB3B5D
	v_mul_f32_e32 v94, v94, v158                               // 000000009D58: 0ABD3D5E
	v_mul_f32_e32 v95, v95, v159                               // 000000009D5C: 0ABF3F5F
	s_waitcnt vmcnt(12)                                        // 000000009D60: BF8C0F7C
	v_mul_f32_e32 v60, v96, v96                                // 000000009D64: 0A78C160
	v_mul_f32_e32 v61, v97, v97                                // 000000009D68: 0A7AC361
	v_mul_f32_e32 v62, v98, v98                                // 000000009D6C: 0A7CC562
	v_mul_f32_e32 v63, v99, v99                                // 000000009D70: 0A7EC763
	s_mov_b32 s3, 0xbd92220c                                   // 000000009D74: BE8300FF BD92220C
	v_fma_f32 v60, v60, s3, v1                                 // 000000009D7C: D1CB003C 0404073C
	v_fma_f32 v61, v61, s3, v1                                 // 000000009D84: D1CB003D 0404073D
	v_fma_f32 v62, v62, s3, v1                                 // 000000009D8C: D1CB003E 0404073E
	v_fma_f32 v63, v63, s3, v1                                 // 000000009D94: D1CB003F 0404073F
	v_mul_f32_e32 v60, v60, v96                                // 000000009D9C: 0A78C13C
	v_mul_f32_e32 v61, v61, v97                                // 000000009DA0: 0A7AC33D
	v_mul_f32_e32 v62, v62, v98                                // 000000009DA4: 0A7CC53E
	v_mul_f32_e32 v63, v63, v99                                // 000000009DA8: 0A7EC73F
	v_mul_f32_e64 v60, v60, s6                                 // 000000009DAC: D105003C 00000D3C
	v_mul_f32_e64 v61, v61, s6                                 // 000000009DB4: D105003D 00000D3D
	v_mul_f32_e64 v62, v62, s6                                 // 000000009DBC: D105003E 00000D3E
	v_mul_f32_e64 v63, v63, s6                                 // 000000009DC4: D105003F 00000D3F
	v_exp_f32_e32 v60, v60                                     // 000000009DCC: 7E78413C
	v_exp_f32_e32 v61, v61                                     // 000000009DD0: 7E7A413D
	v_exp_f32_e32 v62, v62                                     // 000000009DD4: 7E7C413E
	v_exp_f32_e32 v63, v63                                     // 000000009DD8: 7E7E413F
	v_add_f32_e64 v60, v60, 1.0                                // 000000009DDC: D101003C 0001E53C
	v_add_f32_e64 v61, v61, 1.0                                // 000000009DE4: D101003D 0001E53D
	v_add_f32_e64 v62, v62, 1.0                                // 000000009DEC: D101003E 0001E53E
	v_add_f32_e64 v63, v63, 1.0                                // 000000009DF4: D101003F 0001E53F
	v_rcp_f32_e32 v60, v60                                     // 000000009DFC: 7E78453C
	v_rcp_f32_e32 v61, v61                                     // 000000009E00: 7E7A453D
	v_rcp_f32_e32 v62, v62                                     // 000000009E04: 7E7C453E
	v_rcp_f32_e32 v63, v63                                     // 000000009E08: 7E7E453F
	v_mul_f32_e32 v96, v96, v60                                // 000000009E0C: 0AC07960
	v_mul_f32_e32 v97, v97, v61                                // 000000009E10: 0AC27B61
	v_mul_f32_e32 v98, v98, v62                                // 000000009E14: 0AC47D62
	v_mul_f32_e32 v99, v99, v63                                // 000000009E18: 0AC67F63
	v_mul_f32_e32 v96, v96, v160                               // 000000009E1C: 0AC14160
	v_mul_f32_e32 v97, v97, v161                               // 000000009E20: 0AC34361
	v_mul_f32_e32 v98, v98, v162                               // 000000009E24: 0AC54562
	v_mul_f32_e32 v99, v99, v163                               // 000000009E28: 0AC74763
	v_mul_f32_e32 v60, v100, v100                              // 000000009E2C: 0A78C964
	v_mul_f32_e32 v61, v101, v101                              // 000000009E30: 0A7ACB65
	v_mul_f32_e32 v62, v102, v102                              // 000000009E34: 0A7CCD66
	v_mul_f32_e32 v63, v103, v103                              // 000000009E38: 0A7ECF67
	s_mov_b32 s3, 0xbd92220c                                   // 000000009E3C: BE8300FF BD92220C
	v_fma_f32 v60, v60, s3, v1                                 // 000000009E44: D1CB003C 0404073C
	v_fma_f32 v61, v61, s3, v1                                 // 000000009E4C: D1CB003D 0404073D
	v_fma_f32 v62, v62, s3, v1                                 // 000000009E54: D1CB003E 0404073E
	v_fma_f32 v63, v63, s3, v1                                 // 000000009E5C: D1CB003F 0404073F
	v_mul_f32_e32 v60, v60, v100                               // 000000009E64: 0A78C93C
	v_mul_f32_e32 v61, v61, v101                               // 000000009E68: 0A7ACB3D
	v_mul_f32_e32 v62, v62, v102                               // 000000009E6C: 0A7CCD3E
	v_mul_f32_e32 v63, v63, v103                               // 000000009E70: 0A7ECF3F
	v_mul_f32_e64 v60, v60, s6                                 // 000000009E74: D105003C 00000D3C
	v_mul_f32_e64 v61, v61, s6                                 // 000000009E7C: D105003D 00000D3D
	v_mul_f32_e64 v62, v62, s6                                 // 000000009E84: D105003E 00000D3E
	v_mul_f32_e64 v63, v63, s6                                 // 000000009E8C: D105003F 00000D3F
	v_exp_f32_e32 v60, v60                                     // 000000009E94: 7E78413C
	v_exp_f32_e32 v61, v61                                     // 000000009E98: 7E7A413D
	v_exp_f32_e32 v62, v62                                     // 000000009E9C: 7E7C413E
	v_exp_f32_e32 v63, v63                                     // 000000009EA0: 7E7E413F
	v_add_f32_e64 v60, v60, 1.0                                // 000000009EA4: D101003C 0001E53C
	v_add_f32_e64 v61, v61, 1.0                                // 000000009EAC: D101003D 0001E53D
	v_add_f32_e64 v62, v62, 1.0                                // 000000009EB4: D101003E 0001E53E
	v_add_f32_e64 v63, v63, 1.0                                // 000000009EBC: D101003F 0001E53F
	v_rcp_f32_e32 v60, v60                                     // 000000009EC4: 7E78453C
	v_rcp_f32_e32 v61, v61                                     // 000000009EC8: 7E7A453D
	v_rcp_f32_e32 v62, v62                                     // 000000009ECC: 7E7C453E
	v_rcp_f32_e32 v63, v63                                     // 000000009ED0: 7E7E453F
	v_mul_f32_e32 v100, v100, v60                              // 000000009ED4: 0AC87964
	v_mul_f32_e32 v101, v101, v61                              // 000000009ED8: 0ACA7B65
	v_mul_f32_e32 v102, v102, v62                              // 000000009EDC: 0ACC7D66
	v_mul_f32_e32 v103, v103, v63                              // 000000009EE0: 0ACE7F67
	v_mul_f32_e32 v100, v100, v164                             // 000000009EE4: 0AC94964
	v_mul_f32_e32 v101, v101, v165                             // 000000009EE8: 0ACB4B65
	v_mul_f32_e32 v102, v102, v166                             // 000000009EEC: 0ACD4D66
	v_mul_f32_e32 v103, v103, v167                             // 000000009EF0: 0ACF4F67
	s_waitcnt vmcnt(12)                                        // 000000009EF4: BF8C0F7C
	v_mul_f32_e32 v60, v104, v104                              // 000000009EF8: 0A78D168
	v_mul_f32_e32 v61, v105, v105                              // 000000009EFC: 0A7AD369
	v_mul_f32_e32 v62, v106, v106                              // 000000009F00: 0A7CD56A
	v_mul_f32_e32 v63, v107, v107                              // 000000009F04: 0A7ED76B
	s_mov_b32 s3, 0xbd92220c                                   // 000000009F08: BE8300FF BD92220C
	v_fma_f32 v60, v60, s3, v1                                 // 000000009F10: D1CB003C 0404073C
	v_fma_f32 v61, v61, s3, v1                                 // 000000009F18: D1CB003D 0404073D
	v_fma_f32 v62, v62, s3, v1                                 // 000000009F20: D1CB003E 0404073E
	v_fma_f32 v63, v63, s3, v1                                 // 000000009F28: D1CB003F 0404073F
	v_mul_f32_e32 v60, v60, v104                               // 000000009F30: 0A78D13C
	v_mul_f32_e32 v61, v61, v105                               // 000000009F34: 0A7AD33D
	v_mul_f32_e32 v62, v62, v106                               // 000000009F38: 0A7CD53E
	v_mul_f32_e32 v63, v63, v107                               // 000000009F3C: 0A7ED73F
	v_mul_f32_e64 v60, v60, s6                                 // 000000009F40: D105003C 00000D3C
	v_mul_f32_e64 v61, v61, s6                                 // 000000009F48: D105003D 00000D3D
	v_mul_f32_e64 v62, v62, s6                                 // 000000009F50: D105003E 00000D3E
	v_mul_f32_e64 v63, v63, s6                                 // 000000009F58: D105003F 00000D3F
	v_exp_f32_e32 v60, v60                                     // 000000009F60: 7E78413C
	v_exp_f32_e32 v61, v61                                     // 000000009F64: 7E7A413D
	v_exp_f32_e32 v62, v62                                     // 000000009F68: 7E7C413E
	v_exp_f32_e32 v63, v63                                     // 000000009F6C: 7E7E413F
	v_add_f32_e64 v60, v60, 1.0                                // 000000009F70: D101003C 0001E53C
	v_add_f32_e64 v61, v61, 1.0                                // 000000009F78: D101003D 0001E53D
	v_add_f32_e64 v62, v62, 1.0                                // 000000009F80: D101003E 0001E53E
	v_add_f32_e64 v63, v63, 1.0                                // 000000009F88: D101003F 0001E53F
	v_rcp_f32_e32 v60, v60                                     // 000000009F90: 7E78453C
	v_rcp_f32_e32 v61, v61                                     // 000000009F94: 7E7A453D
	v_rcp_f32_e32 v62, v62                                     // 000000009F98: 7E7C453E
	v_rcp_f32_e32 v63, v63                                     // 000000009F9C: 7E7E453F
	v_mul_f32_e32 v104, v104, v60                              // 000000009FA0: 0AD07968
	v_mul_f32_e32 v105, v105, v61                              // 000000009FA4: 0AD27B69
	v_mul_f32_e32 v106, v106, v62                              // 000000009FA8: 0AD47D6A
	v_mul_f32_e32 v107, v107, v63                              // 000000009FAC: 0AD67F6B
	v_mul_f32_e32 v104, v104, v168                             // 000000009FB0: 0AD15168
	v_mul_f32_e32 v105, v105, v169                             // 000000009FB4: 0AD35369
	v_mul_f32_e32 v106, v106, v170                             // 000000009FB8: 0AD5556A
	v_mul_f32_e32 v107, v107, v171                             // 000000009FBC: 0AD7576B
	v_mul_f32_e32 v60, v108, v108                              // 000000009FC0: 0A78D96C
	v_mul_f32_e32 v61, v109, v109                              // 000000009FC4: 0A7ADB6D
	v_mul_f32_e32 v62, v110, v110                              // 000000009FC8: 0A7CDD6E
	v_mul_f32_e32 v63, v111, v111                              // 000000009FCC: 0A7EDF6F
	s_mov_b32 s3, 0xbd92220c                                   // 000000009FD0: BE8300FF BD92220C
	v_fma_f32 v60, v60, s3, v1                                 // 000000009FD8: D1CB003C 0404073C
	v_fma_f32 v61, v61, s3, v1                                 // 000000009FE0: D1CB003D 0404073D
	v_fma_f32 v62, v62, s3, v1                                 // 000000009FE8: D1CB003E 0404073E
	v_fma_f32 v63, v63, s3, v1                                 // 000000009FF0: D1CB003F 0404073F
	v_mul_f32_e32 v60, v60, v108                               // 000000009FF8: 0A78D93C
	v_mul_f32_e32 v61, v61, v109                               // 000000009FFC: 0A7ADB3D
	v_mul_f32_e32 v62, v62, v110                               // 00000000A000: 0A7CDD3E
	v_mul_f32_e32 v63, v63, v111                               // 00000000A004: 0A7EDF3F
	v_mul_f32_e64 v60, v60, s6                                 // 00000000A008: D105003C 00000D3C
	v_mul_f32_e64 v61, v61, s6                                 // 00000000A010: D105003D 00000D3D
	v_mul_f32_e64 v62, v62, s6                                 // 00000000A018: D105003E 00000D3E
	v_mul_f32_e64 v63, v63, s6                                 // 00000000A020: D105003F 00000D3F
	v_exp_f32_e32 v60, v60                                     // 00000000A028: 7E78413C
	v_exp_f32_e32 v61, v61                                     // 00000000A02C: 7E7A413D
	v_exp_f32_e32 v62, v62                                     // 00000000A030: 7E7C413E
	v_exp_f32_e32 v63, v63                                     // 00000000A034: 7E7E413F
	v_add_f32_e64 v60, v60, 1.0                                // 00000000A038: D101003C 0001E53C
	v_add_f32_e64 v61, v61, 1.0                                // 00000000A040: D101003D 0001E53D
	v_add_f32_e64 v62, v62, 1.0                                // 00000000A048: D101003E 0001E53E
	v_add_f32_e64 v63, v63, 1.0                                // 00000000A050: D101003F 0001E53F
	v_rcp_f32_e32 v60, v60                                     // 00000000A058: 7E78453C
	v_rcp_f32_e32 v61, v61                                     // 00000000A05C: 7E7A453D
	v_rcp_f32_e32 v62, v62                                     // 00000000A060: 7E7C453E
	v_rcp_f32_e32 v63, v63                                     // 00000000A064: 7E7E453F
	v_mul_f32_e32 v108, v108, v60                              // 00000000A068: 0AD8796C
	v_mul_f32_e32 v109, v109, v61                              // 00000000A06C: 0ADA7B6D
	v_mul_f32_e32 v110, v110, v62                              // 00000000A070: 0ADC7D6E
	v_mul_f32_e32 v111, v111, v63                              // 00000000A074: 0ADE7F6F
	v_mul_f32_e32 v108, v108, v172                             // 00000000A078: 0AD9596C
	v_mul_f32_e32 v109, v109, v173                             // 00000000A07C: 0ADB5B6D
	v_mul_f32_e32 v110, v110, v174                             // 00000000A080: 0ADD5D6E
	v_mul_f32_e32 v111, v111, v175                             // 00000000A084: 0ADF5F6F
	s_waitcnt vmcnt(12)                                        // 00000000A088: BF8C0F7C
	v_mul_f32_e32 v60, v112, v112                              // 00000000A08C: 0A78E170
	v_mul_f32_e32 v61, v113, v113                              // 00000000A090: 0A7AE371
	v_mul_f32_e32 v62, v114, v114                              // 00000000A094: 0A7CE572
	v_mul_f32_e32 v63, v115, v115                              // 00000000A098: 0A7EE773
	s_mov_b32 s3, 0xbd92220c                                   // 00000000A09C: BE8300FF BD92220C
	v_fma_f32 v60, v60, s3, v1                                 // 00000000A0A4: D1CB003C 0404073C
	v_fma_f32 v61, v61, s3, v1                                 // 00000000A0AC: D1CB003D 0404073D
	v_fma_f32 v62, v62, s3, v1                                 // 00000000A0B4: D1CB003E 0404073E
	v_fma_f32 v63, v63, s3, v1                                 // 00000000A0BC: D1CB003F 0404073F
	v_mul_f32_e32 v60, v60, v112                               // 00000000A0C4: 0A78E13C
	v_mul_f32_e32 v61, v61, v113                               // 00000000A0C8: 0A7AE33D
	v_mul_f32_e32 v62, v62, v114                               // 00000000A0CC: 0A7CE53E
	v_mul_f32_e32 v63, v63, v115                               // 00000000A0D0: 0A7EE73F
	v_mul_f32_e64 v60, v60, s6                                 // 00000000A0D4: D105003C 00000D3C
	v_mul_f32_e64 v61, v61, s6                                 // 00000000A0DC: D105003D 00000D3D
	v_mul_f32_e64 v62, v62, s6                                 // 00000000A0E4: D105003E 00000D3E
	v_mul_f32_e64 v63, v63, s6                                 // 00000000A0EC: D105003F 00000D3F
	v_exp_f32_e32 v60, v60                                     // 00000000A0F4: 7E78413C
	v_exp_f32_e32 v61, v61                                     // 00000000A0F8: 7E7A413D
	v_exp_f32_e32 v62, v62                                     // 00000000A0FC: 7E7C413E
	v_exp_f32_e32 v63, v63                                     // 00000000A100: 7E7E413F
	v_add_f32_e64 v60, v60, 1.0                                // 00000000A104: D101003C 0001E53C
	v_add_f32_e64 v61, v61, 1.0                                // 00000000A10C: D101003D 0001E53D
	v_add_f32_e64 v62, v62, 1.0                                // 00000000A114: D101003E 0001E53E
	v_add_f32_e64 v63, v63, 1.0                                // 00000000A11C: D101003F 0001E53F
	v_rcp_f32_e32 v60, v60                                     // 00000000A124: 7E78453C
	v_rcp_f32_e32 v61, v61                                     // 00000000A128: 7E7A453D
	v_rcp_f32_e32 v62, v62                                     // 00000000A12C: 7E7C453E
	v_rcp_f32_e32 v63, v63                                     // 00000000A130: 7E7E453F
	v_mul_f32_e32 v112, v112, v60                              // 00000000A134: 0AE07970
	v_mul_f32_e32 v113, v113, v61                              // 00000000A138: 0AE27B71
	v_mul_f32_e32 v114, v114, v62                              // 00000000A13C: 0AE47D72
	v_mul_f32_e32 v115, v115, v63                              // 00000000A140: 0AE67F73
	v_mul_f32_e32 v112, v112, v176                             // 00000000A144: 0AE16170
	v_mul_f32_e32 v113, v113, v177                             // 00000000A148: 0AE36371
	v_mul_f32_e32 v114, v114, v178                             // 00000000A14C: 0AE56572
	v_mul_f32_e32 v115, v115, v179                             // 00000000A150: 0AE76773
	v_mul_f32_e32 v60, v116, v116                              // 00000000A154: 0A78E974
	v_mul_f32_e32 v61, v117, v117                              // 00000000A158: 0A7AEB75
	v_mul_f32_e32 v62, v118, v118                              // 00000000A15C: 0A7CED76
	v_mul_f32_e32 v63, v119, v119                              // 00000000A160: 0A7EEF77
	s_mov_b32 s3, 0xbd92220c                                   // 00000000A164: BE8300FF BD92220C
	v_fma_f32 v60, v60, s3, v1                                 // 00000000A16C: D1CB003C 0404073C
	v_fma_f32 v61, v61, s3, v1                                 // 00000000A174: D1CB003D 0404073D
	v_fma_f32 v62, v62, s3, v1                                 // 00000000A17C: D1CB003E 0404073E
	v_fma_f32 v63, v63, s3, v1                                 // 00000000A184: D1CB003F 0404073F
	v_mul_f32_e32 v60, v60, v116                               // 00000000A18C: 0A78E93C
	v_mul_f32_e32 v61, v61, v117                               // 00000000A190: 0A7AEB3D
	v_mul_f32_e32 v62, v62, v118                               // 00000000A194: 0A7CED3E
	v_mul_f32_e32 v63, v63, v119                               // 00000000A198: 0A7EEF3F
	v_mul_f32_e64 v60, v60, s6                                 // 00000000A19C: D105003C 00000D3C
	v_mul_f32_e64 v61, v61, s6                                 // 00000000A1A4: D105003D 00000D3D
	v_mul_f32_e64 v62, v62, s6                                 // 00000000A1AC: D105003E 00000D3E
	v_mul_f32_e64 v63, v63, s6                                 // 00000000A1B4: D105003F 00000D3F
	v_exp_f32_e32 v60, v60                                     // 00000000A1BC: 7E78413C
	v_exp_f32_e32 v61, v61                                     // 00000000A1C0: 7E7A413D
	v_exp_f32_e32 v62, v62                                     // 00000000A1C4: 7E7C413E
	v_exp_f32_e32 v63, v63                                     // 00000000A1C8: 7E7E413F
	v_add_f32_e64 v60, v60, 1.0                                // 00000000A1CC: D101003C 0001E53C
	v_add_f32_e64 v61, v61, 1.0                                // 00000000A1D4: D101003D 0001E53D
	v_add_f32_e64 v62, v62, 1.0                                // 00000000A1DC: D101003E 0001E53E
	v_add_f32_e64 v63, v63, 1.0                                // 00000000A1E4: D101003F 0001E53F
	v_rcp_f32_e32 v60, v60                                     // 00000000A1EC: 7E78453C
	v_rcp_f32_e32 v61, v61                                     // 00000000A1F0: 7E7A453D
	v_rcp_f32_e32 v62, v62                                     // 00000000A1F4: 7E7C453E
	v_rcp_f32_e32 v63, v63                                     // 00000000A1F8: 7E7E453F
	v_mul_f32_e32 v116, v116, v60                              // 00000000A1FC: 0AE87974
	v_mul_f32_e32 v117, v117, v61                              // 00000000A200: 0AEA7B75
	v_mul_f32_e32 v118, v118, v62                              // 00000000A204: 0AEC7D76
	v_mul_f32_e32 v119, v119, v63                              // 00000000A208: 0AEE7F77
	v_mul_f32_e32 v116, v116, v180                             // 00000000A20C: 0AE96974
	v_mul_f32_e32 v117, v117, v181                             // 00000000A210: 0AEB6B75
	v_mul_f32_e32 v118, v118, v182                             // 00000000A214: 0AED6D76
	v_mul_f32_e32 v119, v119, v183                             // 00000000A218: 0AEF6F77
	s_waitcnt vmcnt(12)                                        // 00000000A21C: BF8C0F7C
	v_mul_f32_e32 v60, v120, v120                              // 00000000A220: 0A78F178
	v_mul_f32_e32 v61, v121, v121                              // 00000000A224: 0A7AF379
	v_mul_f32_e32 v62, v122, v122                              // 00000000A228: 0A7CF57A
	v_mul_f32_e32 v63, v123, v123                              // 00000000A22C: 0A7EF77B
	s_mov_b32 s3, 0xbd92220c                                   // 00000000A230: BE8300FF BD92220C
	v_fma_f32 v60, v60, s3, v1                                 // 00000000A238: D1CB003C 0404073C
	v_fma_f32 v61, v61, s3, v1                                 // 00000000A240: D1CB003D 0404073D
	v_fma_f32 v62, v62, s3, v1                                 // 00000000A248: D1CB003E 0404073E
	v_fma_f32 v63, v63, s3, v1                                 // 00000000A250: D1CB003F 0404073F
	v_mul_f32_e32 v60, v60, v120                               // 00000000A258: 0A78F13C
	v_mul_f32_e32 v61, v61, v121                               // 00000000A25C: 0A7AF33D
	v_mul_f32_e32 v62, v62, v122                               // 00000000A260: 0A7CF53E
	v_mul_f32_e32 v63, v63, v123                               // 00000000A264: 0A7EF73F
	v_mul_f32_e64 v60, v60, s6                                 // 00000000A268: D105003C 00000D3C
	v_mul_f32_e64 v61, v61, s6                                 // 00000000A270: D105003D 00000D3D
	v_mul_f32_e64 v62, v62, s6                                 // 00000000A278: D105003E 00000D3E
	v_mul_f32_e64 v63, v63, s6                                 // 00000000A280: D105003F 00000D3F
	v_exp_f32_e32 v60, v60                                     // 00000000A288: 7E78413C
	v_exp_f32_e32 v61, v61                                     // 00000000A28C: 7E7A413D
	v_exp_f32_e32 v62, v62                                     // 00000000A290: 7E7C413E
	v_exp_f32_e32 v63, v63                                     // 00000000A294: 7E7E413F
	v_add_f32_e64 v60, v60, 1.0                                // 00000000A298: D101003C 0001E53C
	v_add_f32_e64 v61, v61, 1.0                                // 00000000A2A0: D101003D 0001E53D
	v_add_f32_e64 v62, v62, 1.0                                // 00000000A2A8: D101003E 0001E53E
	v_add_f32_e64 v63, v63, 1.0                                // 00000000A2B0: D101003F 0001E53F
	v_rcp_f32_e32 v60, v60                                     // 00000000A2B8: 7E78453C
	v_rcp_f32_e32 v61, v61                                     // 00000000A2BC: 7E7A453D
	v_rcp_f32_e32 v62, v62                                     // 00000000A2C0: 7E7C453E
	v_rcp_f32_e32 v63, v63                                     // 00000000A2C4: 7E7E453F
	v_mul_f32_e32 v120, v120, v60                              // 00000000A2C8: 0AF07978
	v_mul_f32_e32 v121, v121, v61                              // 00000000A2CC: 0AF27B79
	v_mul_f32_e32 v122, v122, v62                              // 00000000A2D0: 0AF47D7A
	v_mul_f32_e32 v123, v123, v63                              // 00000000A2D4: 0AF67F7B
	v_mul_f32_e32 v120, v120, v184                             // 00000000A2D8: 0AF17178
	v_mul_f32_e32 v121, v121, v185                             // 00000000A2DC: 0AF37379
	v_mul_f32_e32 v122, v122, v186                             // 00000000A2E0: 0AF5757A
	v_mul_f32_e32 v123, v123, v187                             // 00000000A2E4: 0AF7777B
	v_mul_f32_e32 v60, v124, v124                              // 00000000A2E8: 0A78F97C
	v_mul_f32_e32 v61, v125, v125                              // 00000000A2EC: 0A7AFB7D
	v_mul_f32_e32 v62, v126, v126                              // 00000000A2F0: 0A7CFD7E
	v_mul_f32_e32 v63, v127, v127                              // 00000000A2F4: 0A7EFF7F
	s_mov_b32 s3, 0xbd92220c                                   // 00000000A2F8: BE8300FF BD92220C
	v_fma_f32 v60, v60, s3, v1                                 // 00000000A300: D1CB003C 0404073C
	v_fma_f32 v61, v61, s3, v1                                 // 00000000A308: D1CB003D 0404073D
	v_fma_f32 v62, v62, s3, v1                                 // 00000000A310: D1CB003E 0404073E
	v_fma_f32 v63, v63, s3, v1                                 // 00000000A318: D1CB003F 0404073F
	v_mul_f32_e32 v60, v60, v124                               // 00000000A320: 0A78F93C
	v_mul_f32_e32 v61, v61, v125                               // 00000000A324: 0A7AFB3D
	v_mul_f32_e32 v62, v62, v126                               // 00000000A328: 0A7CFD3E
	v_mul_f32_e32 v63, v63, v127                               // 00000000A32C: 0A7EFF3F
	v_mul_f32_e64 v60, v60, s6                                 // 00000000A330: D105003C 00000D3C
	v_mul_f32_e64 v61, v61, s6                                 // 00000000A338: D105003D 00000D3D
	v_mul_f32_e64 v62, v62, s6                                 // 00000000A340: D105003E 00000D3E
	v_mul_f32_e64 v63, v63, s6                                 // 00000000A348: D105003F 00000D3F
	v_exp_f32_e32 v60, v60                                     // 00000000A350: 7E78413C
	v_exp_f32_e32 v61, v61                                     // 00000000A354: 7E7A413D
	v_exp_f32_e32 v62, v62                                     // 00000000A358: 7E7C413E
	v_exp_f32_e32 v63, v63                                     // 00000000A35C: 7E7E413F
	v_add_f32_e64 v60, v60, 1.0                                // 00000000A360: D101003C 0001E53C
	v_add_f32_e64 v61, v61, 1.0                                // 00000000A368: D101003D 0001E53D
	v_add_f32_e64 v62, v62, 1.0                                // 00000000A370: D101003E 0001E53E
	v_add_f32_e64 v63, v63, 1.0                                // 00000000A378: D101003F 0001E53F
	v_rcp_f32_e32 v60, v60                                     // 00000000A380: 7E78453C
	v_rcp_f32_e32 v61, v61                                     // 00000000A384: 7E7A453D
	v_rcp_f32_e32 v62, v62                                     // 00000000A388: 7E7C453E
	v_rcp_f32_e32 v63, v63                                     // 00000000A38C: 7E7E453F
	v_mul_f32_e32 v124, v124, v60                              // 00000000A390: 0AF8797C
	v_mul_f32_e32 v125, v125, v61                              // 00000000A394: 0AFA7B7D
	v_mul_f32_e32 v126, v126, v62                              // 00000000A398: 0AFC7D7E
	v_mul_f32_e32 v127, v127, v63                              // 00000000A39C: 0AFE7F7F
	v_mul_f32_e32 v124, v124, v188                             // 00000000A3A0: 0AF9797C
	v_mul_f32_e32 v125, v125, v189                             // 00000000A3A4: 0AFB7B7D
	v_mul_f32_e32 v126, v126, v190                             // 00000000A3A8: 0AFD7D7E
	v_mul_f32_e32 v127, v127, v191                             // 00000000A3AC: 0AFF7F7F
	buffer_load_dword v37, v8, s[16:19], 0 offen               // 00000000A3B0: E0501000 80042508
	v_mov_b32_e32 v192, 0x358637bd                             // 00000000A3B8: 7F8002FF 358637BD
	v_mov_b32_e32 v193, 0x358637bd                             // 00000000A3C0: 7F8202FF 358637BD
	v_mov_b32_e32 v194, 0x358637bd                             // 00000000A3C8: 7F8402FF 358637BD
	v_mov_b32_e32 v195, 0x358637bd                             // 00000000A3D0: 7F8602FF 358637BD
	v_max3_f32 v192, |v64|, |v65|, v192                        // 00000000A3D8: D1D303C0 07028340
	v_max3_f32 v192, |v66|, |v67|, v192                        // 00000000A3E0: D1D303C0 07028742
	v_max3_f32 v193, |v68|, |v69|, v193                        // 00000000A3E8: D1D303C1 07068B44
	v_max3_f32 v193, |v70|, |v71|, v193                        // 00000000A3F0: D1D303C1 07068F46
	v_max3_f32 v194, |v72|, |v73|, v194                        // 00000000A3F8: D1D303C2 070A9348
	v_max3_f32 v194, |v74|, |v75|, v194                        // 00000000A400: D1D303C2 070A974A
	v_max3_f32 v195, |v76|, |v77|, v195                        // 00000000A408: D1D303C3 070E9B4C
	v_max3_f32 v195, |v78|, |v79|, v195                        // 00000000A410: D1D303C3 070E9F4E
	v_max3_f32 v192, |v80|, |v81|, v192                        // 00000000A418: D1D303C0 0702A350
	v_max3_f32 v192, |v82|, |v83|, v192                        // 00000000A420: D1D303C0 0702A752
	v_max3_f32 v193, |v84|, |v85|, v193                        // 00000000A428: D1D303C1 0706AB54
	v_max3_f32 v193, |v86|, |v87|, v193                        // 00000000A430: D1D303C1 0706AF56
	v_max3_f32 v194, |v88|, |v89|, v194                        // 00000000A438: D1D303C2 070AB358
	v_max3_f32 v194, |v90|, |v91|, v194                        // 00000000A440: D1D303C2 070AB75A
	v_max3_f32 v195, |v92|, |v93|, v195                        // 00000000A448: D1D303C3 070EBB5C
	v_max3_f32 v195, |v94|, |v95|, v195                        // 00000000A450: D1D303C3 070EBF5E
	v_mov_b32_e32 v60, v192                                    // 00000000A458: 7E7803C0
	s_nop 1                                                    // 00000000A45C: BF800001
	v_permlane32_swap_b32_e32 v60, v192                        // 00000000A460: 7E78B5C0
	v_max_f32_e32 v192, v60, v192                              // 00000000A464: 1781813C
	v_mov_b32_e32 v60, v192                                    // 00000000A468: 7E7803C0
	s_nop 1                                                    // 00000000A46C: BF800001
	v_permlane16_swap_b32_e32 v60, v192                        // 00000000A470: 7E78B3C0
	v_max_f32_e32 v192, v60, v192                              // 00000000A474: 1781813C
	v_mov_b32_e32 v60, v193                                    // 00000000A478: 7E7803C1
	s_nop 1                                                    // 00000000A47C: BF800001
	v_permlane32_swap_b32_e32 v60, v193                        // 00000000A480: 7E78B5C1
	v_max_f32_e32 v193, v60, v193                              // 00000000A484: 1783833C
	v_mov_b32_e32 v60, v193                                    // 00000000A488: 7E7803C1
	s_nop 1                                                    // 00000000A48C: BF800001
	v_permlane16_swap_b32_e32 v60, v193                        // 00000000A490: 7E78B3C1
	v_max_f32_e32 v193, v60, v193                              // 00000000A494: 1783833C
	v_mov_b32_e32 v60, v194                                    // 00000000A498: 7E7803C2
	s_nop 1                                                    // 00000000A49C: BF800001
	v_permlane32_swap_b32_e32 v60, v194                        // 00000000A4A0: 7E78B5C2
	v_max_f32_e32 v194, v60, v194                              // 00000000A4A4: 1785853C
	v_mov_b32_e32 v60, v194                                    // 00000000A4A8: 7E7803C2
	s_nop 1                                                    // 00000000A4AC: BF800001
	v_permlane16_swap_b32_e32 v60, v194                        // 00000000A4B0: 7E78B3C2
	v_max_f32_e32 v194, v60, v194                              // 00000000A4B4: 1785853C
	v_mov_b32_e32 v60, v195                                    // 00000000A4B8: 7E7803C3
	s_nop 1                                                    // 00000000A4BC: BF800001
	v_permlane32_swap_b32_e32 v60, v195                        // 00000000A4C0: 7E78B5C3
	v_max_f32_e32 v195, v60, v195                              // 00000000A4C4: 1787873C
	v_mov_b32_e32 v60, v195                                    // 00000000A4C8: 7E7803C3
	s_nop 1                                                    // 00000000A4CC: BF800001
	v_permlane16_swap_b32_e32 v60, v195                        // 00000000A4D0: 7E78B3C3
	v_max_f32_e32 v195, v60, v195                              // 00000000A4D4: 1787873C
	v_lshlrev_b32_e32 v60, 2, v0                               // 00000000A4D8: 24780082
	s_mul_i32 s56, 64, s7                                      // 00000000A4DC: 923807C0
	v_add_u32_e32 v60, s56, v60                                // 00000000A4E0: 68787838
	s_mov_b32 s56, 0xffff                                      // 00000000A4E4: BEB800FF 0000FFFF
	s_mov_b32 s57, 0                                           // 00000000A4EC: BEB90080
	s_mov_b64 exec, s[56:57]                                   // 00000000A4F0: BEFE0138
	ds_write_b32 v60, v192 offset:37888                        // 00000000A4F4: D81A9400 0000C03C
	ds_write_b32 v60, v193 offset:38144                        // 00000000A4FC: D81A9500 0000C13C
	ds_write_b32 v60, v194 offset:38400                        // 00000000A504: D81A9600 0000C23C
	ds_write_b32 v60, v195 offset:38656                        // 00000000A50C: D81A9700 0000C33C
	s_mov_b32 s56, -1                                          // 00000000A514: BEB800C1
	s_mov_b32 s57, -1                                          // 00000000A518: BEB900C1
	s_mov_b64 exec, s[56:57]                                   // 00000000A51C: BEFE0138
	s_waitcnt lgkmcnt(0)                                       // 00000000A520: BF8CC07F
	s_barrier                                                  // 00000000A524: BF8A0000
	v_lshlrev_b32_e32 v60, 2, v0                               // 00000000A528: 24780082
	ds_read_b32 v252, v60 offset:37888                         // 00000000A52C: D86C9400 FC00003C
	ds_read_b32 v253, v60 offset:38144                         // 00000000A534: D86C9500 FD00003C
	ds_read_b32 v254, v60 offset:38400                         // 00000000A53C: D86C9600 FE00003C
	ds_read_b32 v255, v60 offset:38656                         // 00000000A544: D86C9700 FF00003C
	s_waitcnt lgkmcnt(0)                                       // 00000000A54C: BF8CC07F
	v_mov_b32_e32 v60, v252                                    // 00000000A550: 7E7803FC
	s_nop 1                                                    // 00000000A554: BF800001
	v_permlane32_swap_b32_e32 v60, v252                        // 00000000A558: 7E78B5FC
	v_max_f32_e32 v252, v60, v252                              // 00000000A55C: 17F9F93C
	v_mov_b32_e32 v60, v252                                    // 00000000A560: 7E7803FC
	s_nop 1                                                    // 00000000A564: BF800001
	v_permlane16_swap_b32_e32 v60, v252                        // 00000000A568: 7E78B3FC
	v_max_f32_e32 v252, v60, v252                              // 00000000A56C: 17F9F93C
	v_mov_b32_e32 v60, v253                                    // 00000000A570: 7E7803FD
	s_nop 1                                                    // 00000000A574: BF800001
	v_permlane32_swap_b32_e32 v60, v253                        // 00000000A578: 7E78B5FD
	v_max_f32_e32 v253, v60, v253                              // 00000000A57C: 17FBFB3C
	v_mov_b32_e32 v60, v253                                    // 00000000A580: 7E7803FD
	s_nop 1                                                    // 00000000A584: BF800001
	v_permlane16_swap_b32_e32 v60, v253                        // 00000000A588: 7E78B3FD
	v_max_f32_e32 v253, v60, v253                              // 00000000A58C: 17FBFB3C
	v_mov_b32_e32 v60, v254                                    // 00000000A590: 7E7803FE
	s_nop 1                                                    // 00000000A594: BF800001
	v_permlane32_swap_b32_e32 v60, v254                        // 00000000A598: 7E78B5FE
	v_max_f32_e32 v254, v60, v254                              // 00000000A59C: 17FDFD3C
	v_mov_b32_e32 v60, v254                                    // 00000000A5A0: 7E7803FE
	s_nop 1                                                    // 00000000A5A4: BF800001
	v_permlane16_swap_b32_e32 v60, v254                        // 00000000A5A8: 7E78B3FE
	v_max_f32_e32 v254, v60, v254                              // 00000000A5AC: 17FDFD3C
	v_mov_b32_e32 v60, v255                                    // 00000000A5B0: 7E7803FF
	s_nop 1                                                    // 00000000A5B4: BF800001
	v_permlane32_swap_b32_e32 v60, v255                        // 00000000A5B8: 7E78B5FF
	v_max_f32_e32 v255, v60, v255                              // 00000000A5BC: 17FFFF3C
	v_mov_b32_e32 v60, v255                                    // 00000000A5C0: 7E7803FF
	s_nop 1                                                    // 00000000A5C4: BF800001
	v_permlane16_swap_b32_e32 v60, v255                        // 00000000A5C8: 7E78B3FF
	v_max_f32_e32 v255, v60, v255                              // 00000000A5CC: 17FFFF3C
	v_max_f32_e32 v192, v252, v192                             // 00000000A5D0: 178181FC
	v_max_f32_e32 v193, v253, v193                             // 00000000A5D4: 178383FD
	v_max_f32_e32 v194, v254, v194                             // 00000000A5D8: 178585FE
	v_max_f32_e32 v195, v255, v195                             // 00000000A5DC: 178787FF
	v_rcp_f32_e32 v192, v192                                   // 00000000A5E0: 7F8045C0
	v_rcp_f32_e32 v193, v193                                   // 00000000A5E4: 7F8245C1
	v_rcp_f32_e32 v194, v194                                   // 00000000A5E8: 7F8445C2
	v_rcp_f32_e32 v195, v195                                   // 00000000A5EC: 7F8645C3
	v_mov_b32_e32 v60, 0x43e00000                              // 00000000A5F0: 7E7802FF 43E00000
	v_mul_f32_e32 v192, v60, v192                              // 00000000A5F8: 0B81813C
	v_mul_f32_e32 v193, v60, v193                              // 00000000A5FC: 0B83833C
	v_mul_f32_e32 v194, v60, v194                              // 00000000A600: 0B85853C
	v_mul_f32_e32 v195, v60, v195                              // 00000000A604: 0B87873C
	v_mul_f32_e32 v64, v192, v64                               // 00000000A608: 0A8081C0
	v_mul_f32_e32 v65, v192, v65                               // 00000000A60C: 0A8283C0
	v_mul_f32_e32 v66, v192, v66                               // 00000000A610: 0A8485C0
	v_mul_f32_e32 v67, v192, v67                               // 00000000A614: 0A8687C0
	v_cvt_pk_fp8_f32 v64, v64, v65                             // 00000000A618: D2A20040 00028340
	v_cvt_pk_fp8_f32 v64, v66, v67 op_sel:[0,0,1]              // 00000000A620: D2A24040 00028742
	v_mul_f32_e32 v68, v193, v68                               // 00000000A628: 0A8889C1
	v_mul_f32_e32 v69, v193, v69                               // 00000000A62C: 0A8A8BC1
	v_mul_f32_e32 v70, v193, v70                               // 00000000A630: 0A8C8DC1
	v_mul_f32_e32 v71, v193, v71                               // 00000000A634: 0A8E8FC1
	v_cvt_pk_fp8_f32 v65, v68, v69                             // 00000000A638: D2A20041 00028B44
	v_cvt_pk_fp8_f32 v65, v70, v71 op_sel:[0,0,1]              // 00000000A640: D2A24041 00028F46
	v_mul_f32_e32 v72, v194, v72                               // 00000000A648: 0A9091C2
	v_mul_f32_e32 v73, v194, v73                               // 00000000A64C: 0A9293C2
	v_mul_f32_e32 v74, v194, v74                               // 00000000A650: 0A9495C2
	v_mul_f32_e32 v75, v194, v75                               // 00000000A654: 0A9697C2
	v_cvt_pk_fp8_f32 v66, v72, v73                             // 00000000A658: D2A20042 00029348
	v_cvt_pk_fp8_f32 v66, v74, v75 op_sel:[0,0,1]              // 00000000A660: D2A24042 0002974A
	v_mul_f32_e32 v76, v195, v76                               // 00000000A668: 0A9899C3
	v_mul_f32_e32 v77, v195, v77                               // 00000000A66C: 0A9A9BC3
	v_mul_f32_e32 v78, v195, v78                               // 00000000A670: 0A9C9DC3
	v_mul_f32_e32 v79, v195, v79                               // 00000000A674: 0A9E9FC3
	v_cvt_pk_fp8_f32 v67, v76, v77                             // 00000000A678: D2A20043 00029B4C
	v_cvt_pk_fp8_f32 v67, v78, v79 op_sel:[0,0,1]              // 00000000A680: D2A24043 00029F4E
	v_mul_f32_e32 v80, v192, v80                               // 00000000A688: 0AA0A1C0
	v_mul_f32_e32 v81, v192, v81                               // 00000000A68C: 0AA2A3C0
	v_mul_f32_e32 v82, v192, v82                               // 00000000A690: 0AA4A5C0
	v_mul_f32_e32 v83, v192, v83                               // 00000000A694: 0AA6A7C0
	v_cvt_pk_fp8_f32 v68, v80, v81                             // 00000000A698: D2A20044 0002A350
	v_cvt_pk_fp8_f32 v68, v82, v83 op_sel:[0,0,1]              // 00000000A6A0: D2A24044 0002A752
	v_mul_f32_e32 v84, v193, v84                               // 00000000A6A8: 0AA8A9C1
	v_mul_f32_e32 v85, v193, v85                               // 00000000A6AC: 0AAAABC1
	v_mul_f32_e32 v86, v193, v86                               // 00000000A6B0: 0AACADC1
	v_mul_f32_e32 v87, v193, v87                               // 00000000A6B4: 0AAEAFC1
	v_cvt_pk_fp8_f32 v69, v84, v85                             // 00000000A6B8: D2A20045 0002AB54
	v_cvt_pk_fp8_f32 v69, v86, v87 op_sel:[0,0,1]              // 00000000A6C0: D2A24045 0002AF56
	v_mul_f32_e32 v88, v194, v88                               // 00000000A6C8: 0AB0B1C2
	v_mul_f32_e32 v89, v194, v89                               // 00000000A6CC: 0AB2B3C2
	v_mul_f32_e32 v90, v194, v90                               // 00000000A6D0: 0AB4B5C2
	v_mul_f32_e32 v91, v194, v91                               // 00000000A6D4: 0AB6B7C2
	v_cvt_pk_fp8_f32 v70, v88, v89                             // 00000000A6D8: D2A20046 0002B358
	v_cvt_pk_fp8_f32 v70, v90, v91 op_sel:[0,0,1]              // 00000000A6E0: D2A24046 0002B75A
	v_mul_f32_e32 v92, v195, v92                               // 00000000A6E8: 0AB8B9C3
	v_mul_f32_e32 v93, v195, v93                               // 00000000A6EC: 0ABABBC3
	v_mul_f32_e32 v94, v195, v94                               // 00000000A6F0: 0ABCBDC3
	v_mul_f32_e32 v95, v195, v95                               // 00000000A6F4: 0ABEBFC3
	v_cvt_pk_fp8_f32 v71, v92, v93                             // 00000000A6F8: D2A20047 0002BB5C
	v_cvt_pk_fp8_f32 v71, v94, v95 op_sel:[0,0,1]              // 00000000A700: D2A24047 0002BF5E
	v_rcp_f32_e32 v21, v192                                    // 00000000A708: 7E2A45C0
	v_rcp_f32_e32 v22, v193                                    // 00000000A70C: 7E2C45C1
	v_rcp_f32_e32 v23, v194                                    // 00000000A710: 7E2E45C2
	v_rcp_f32_e32 v24, v195                                    // 00000000A714: 7E3045C3
	v_mov_b32_e32 v196, 0x358637bd                             // 00000000A718: 7F8802FF 358637BD
	v_mov_b32_e32 v197, 0x358637bd                             // 00000000A720: 7F8A02FF 358637BD
	v_mov_b32_e32 v198, 0x358637bd                             // 00000000A728: 7F8C02FF 358637BD
	v_mov_b32_e32 v199, 0x358637bd                             // 00000000A730: 7F8E02FF 358637BD
	v_max3_f32 v196, |v96|, |v97|, v196                        // 00000000A738: D1D303C4 0712C360
	v_max3_f32 v196, |v98|, |v99|, v196                        // 00000000A740: D1D303C4 0712C762
	v_max3_f32 v197, |v100|, |v101|, v197                      // 00000000A748: D1D303C5 0716CB64
	v_max3_f32 v197, |v102|, |v103|, v197                      // 00000000A750: D1D303C5 0716CF66
	v_max3_f32 v198, |v104|, |v105|, v198                      // 00000000A758: D1D303C6 071AD368
	v_max3_f32 v198, |v106|, |v107|, v198                      // 00000000A760: D1D303C6 071AD76A
	v_max3_f32 v199, |v108|, |v109|, v199                      // 00000000A768: D1D303C7 071EDB6C
	v_max3_f32 v199, |v110|, |v111|, v199                      // 00000000A770: D1D303C7 071EDF6E
	v_max3_f32 v196, |v112|, |v113|, v196                      // 00000000A778: D1D303C4 0712E370
	v_max3_f32 v196, |v114|, |v115|, v196                      // 00000000A780: D1D303C4 0712E772
	v_max3_f32 v197, |v116|, |v117|, v197                      // 00000000A788: D1D303C5 0716EB74
	v_max3_f32 v197, |v118|, |v119|, v197                      // 00000000A790: D1D303C5 0716EF76
	v_max3_f32 v198, |v120|, |v121|, v198                      // 00000000A798: D1D303C6 071AF378
	v_max3_f32 v198, |v122|, |v123|, v198                      // 00000000A7A0: D1D303C6 071AF77A
	v_max3_f32 v199, |v124|, |v125|, v199                      // 00000000A7A8: D1D303C7 071EFB7C
	v_max3_f32 v199, |v126|, |v127|, v199                      // 00000000A7B0: D1D303C7 071EFF7E
	v_mov_b32_e32 v60, v196                                    // 00000000A7B8: 7E7803C4
	s_nop 1                                                    // 00000000A7BC: BF800001
	v_permlane32_swap_b32_e32 v60, v196                        // 00000000A7C0: 7E78B5C4
	v_max_f32_e32 v196, v60, v196                              // 00000000A7C4: 1789893C
	v_mov_b32_e32 v60, v196                                    // 00000000A7C8: 7E7803C4
	s_nop 1                                                    // 00000000A7CC: BF800001
	v_permlane16_swap_b32_e32 v60, v196                        // 00000000A7D0: 7E78B3C4
	v_max_f32_e32 v196, v60, v196                              // 00000000A7D4: 1789893C
	v_mov_b32_e32 v60, v197                                    // 00000000A7D8: 7E7803C5
	s_nop 1                                                    // 00000000A7DC: BF800001
	v_permlane32_swap_b32_e32 v60, v197                        // 00000000A7E0: 7E78B5C5
	v_max_f32_e32 v197, v60, v197                              // 00000000A7E4: 178B8B3C
	v_mov_b32_e32 v60, v197                                    // 00000000A7E8: 7E7803C5
	s_nop 1                                                    // 00000000A7EC: BF800001
	v_permlane16_swap_b32_e32 v60, v197                        // 00000000A7F0: 7E78B3C5
	v_max_f32_e32 v197, v60, v197                              // 00000000A7F4: 178B8B3C
	v_mov_b32_e32 v60, v198                                    // 00000000A7F8: 7E7803C6
	s_nop 1                                                    // 00000000A7FC: BF800001
	v_permlane32_swap_b32_e32 v60, v198                        // 00000000A800: 7E78B5C6
	v_max_f32_e32 v198, v60, v198                              // 00000000A804: 178D8D3C
	v_mov_b32_e32 v60, v198                                    // 00000000A808: 7E7803C6
	s_nop 1                                                    // 00000000A80C: BF800001
	v_permlane16_swap_b32_e32 v60, v198                        // 00000000A810: 7E78B3C6
	v_max_f32_e32 v198, v60, v198                              // 00000000A814: 178D8D3C
	v_mov_b32_e32 v60, v199                                    // 00000000A818: 7E7803C7
	s_nop 1                                                    // 00000000A81C: BF800001
	v_permlane32_swap_b32_e32 v60, v199                        // 00000000A820: 7E78B5C7
	v_max_f32_e32 v199, v60, v199                              // 00000000A824: 178F8F3C
	v_mov_b32_e32 v60, v199                                    // 00000000A828: 7E7803C7
	s_nop 1                                                    // 00000000A82C: BF800001
	v_permlane16_swap_b32_e32 v60, v199                        // 00000000A830: 7E78B3C7
	v_max_f32_e32 v199, v60, v199                              // 00000000A834: 178F8F3C
	v_lshlrev_b32_e32 v60, 2, v0                               // 00000000A838: 24780082
	s_mul_i32 s56, 64, s7                                      // 00000000A83C: 923807C0
	v_add_u32_e32 v60, s56, v60                                // 00000000A840: 68787838
	s_mov_b32 s56, 0xffff                                      // 00000000A844: BEB800FF 0000FFFF
	s_mov_b32 s57, 0                                           // 00000000A84C: BEB90080
	s_mov_b64 exec, s[56:57]                                   // 00000000A850: BEFE0138
	ds_write_b32 v60, v196 offset:37888                        // 00000000A854: D81A9400 0000C43C
	ds_write_b32 v60, v197 offset:38144                        // 00000000A85C: D81A9500 0000C53C
	ds_write_b32 v60, v198 offset:38400                        // 00000000A864: D81A9600 0000C63C
	ds_write_b32 v60, v199 offset:38656                        // 00000000A86C: D81A9700 0000C73C
	s_mov_b32 s56, -1                                          // 00000000A874: BEB800C1
	s_mov_b32 s57, -1                                          // 00000000A878: BEB900C1
	s_mov_b64 exec, s[56:57]                                   // 00000000A87C: BEFE0138
	s_waitcnt lgkmcnt(0)                                       // 00000000A880: BF8CC07F
	s_barrier                                                  // 00000000A884: BF8A0000
	v_lshlrev_b32_e32 v60, 2, v0                               // 00000000A888: 24780082
	ds_read_b32 v252, v60 offset:37888                         // 00000000A88C: D86C9400 FC00003C
	ds_read_b32 v253, v60 offset:38144                         // 00000000A894: D86C9500 FD00003C
	ds_read_b32 v254, v60 offset:38400                         // 00000000A89C: D86C9600 FE00003C
	ds_read_b32 v255, v60 offset:38656                         // 00000000A8A4: D86C9700 FF00003C
	s_waitcnt lgkmcnt(0)                                       // 00000000A8AC: BF8CC07F
	v_mov_b32_e32 v60, v252                                    // 00000000A8B0: 7E7803FC
	s_nop 1                                                    // 00000000A8B4: BF800001
	v_permlane32_swap_b32_e32 v60, v252                        // 00000000A8B8: 7E78B5FC
	v_max_f32_e32 v252, v60, v252                              // 00000000A8BC: 17F9F93C
	v_mov_b32_e32 v60, v252                                    // 00000000A8C0: 7E7803FC
	s_nop 1                                                    // 00000000A8C4: BF800001
	v_permlane16_swap_b32_e32 v60, v252                        // 00000000A8C8: 7E78B3FC
	v_max_f32_e32 v252, v60, v252                              // 00000000A8CC: 17F9F93C
	v_mov_b32_e32 v60, v253                                    // 00000000A8D0: 7E7803FD
	s_nop 1                                                    // 00000000A8D4: BF800001
	v_permlane32_swap_b32_e32 v60, v253                        // 00000000A8D8: 7E78B5FD
	v_max_f32_e32 v253, v60, v253                              // 00000000A8DC: 17FBFB3C
	v_mov_b32_e32 v60, v253                                    // 00000000A8E0: 7E7803FD
	s_nop 1                                                    // 00000000A8E4: BF800001
	v_permlane16_swap_b32_e32 v60, v253                        // 00000000A8E8: 7E78B3FD
	v_max_f32_e32 v253, v60, v253                              // 00000000A8EC: 17FBFB3C
	v_mov_b32_e32 v60, v254                                    // 00000000A8F0: 7E7803FE
	s_nop 1                                                    // 00000000A8F4: BF800001
	v_permlane32_swap_b32_e32 v60, v254                        // 00000000A8F8: 7E78B5FE
	v_max_f32_e32 v254, v60, v254                              // 00000000A8FC: 17FDFD3C
	v_mov_b32_e32 v60, v254                                    // 00000000A900: 7E7803FE
	s_nop 1                                                    // 00000000A904: BF800001
	v_permlane16_swap_b32_e32 v60, v254                        // 00000000A908: 7E78B3FE
	v_max_f32_e32 v254, v60, v254                              // 00000000A90C: 17FDFD3C
	v_mov_b32_e32 v60, v255                                    // 00000000A910: 7E7803FF
	s_nop 1                                                    // 00000000A914: BF800001
	v_permlane32_swap_b32_e32 v60, v255                        // 00000000A918: 7E78B5FF
	v_max_f32_e32 v255, v60, v255                              // 00000000A91C: 17FFFF3C
	v_mov_b32_e32 v60, v255                                    // 00000000A920: 7E7803FF
	s_nop 1                                                    // 00000000A924: BF800001
	v_permlane16_swap_b32_e32 v60, v255                        // 00000000A928: 7E78B3FF
	v_max_f32_e32 v255, v60, v255                              // 00000000A92C: 17FFFF3C
	v_max_f32_e32 v196, v252, v196                             // 00000000A930: 178989FC
	v_max_f32_e32 v197, v253, v197                             // 00000000A934: 178B8BFD
	v_max_f32_e32 v198, v254, v198                             // 00000000A938: 178D8DFE
	v_max_f32_e32 v199, v255, v199                             // 00000000A93C: 178F8FFF
	v_rcp_f32_e32 v196, v196                                   // 00000000A940: 7F8845C4
	v_rcp_f32_e32 v197, v197                                   // 00000000A944: 7F8A45C5
	v_rcp_f32_e32 v198, v198                                   // 00000000A948: 7F8C45C6
	v_rcp_f32_e32 v199, v199                                   // 00000000A94C: 7F8E45C7
	v_mov_b32_e32 v60, 0x43e00000                              // 00000000A950: 7E7802FF 43E00000
	v_mul_f32_e32 v196, v60, v196                              // 00000000A958: 0B89893C
	v_mul_f32_e32 v197, v60, v197                              // 00000000A95C: 0B8B8B3C
	v_mul_f32_e32 v198, v60, v198                              // 00000000A960: 0B8D8D3C
	v_mul_f32_e32 v199, v60, v199                              // 00000000A964: 0B8F8F3C
	v_mul_f32_e32 v96, v196, v96                               // 00000000A968: 0AC0C1C4
	v_mul_f32_e32 v97, v196, v97                               // 00000000A96C: 0AC2C3C4
	v_mul_f32_e32 v98, v196, v98                               // 00000000A970: 0AC4C5C4
	v_mul_f32_e32 v99, v196, v99                               // 00000000A974: 0AC6C7C4
	v_cvt_pk_fp8_f32 v72, v96, v97                             // 00000000A978: D2A20048 0002C360
	v_cvt_pk_fp8_f32 v72, v98, v99 op_sel:[0,0,1]              // 00000000A980: D2A24048 0002C762
	v_mul_f32_e32 v100, v197, v100                             // 00000000A988: 0AC8C9C5
	v_mul_f32_e32 v101, v197, v101                             // 00000000A98C: 0ACACBC5
	v_mul_f32_e32 v102, v197, v102                             // 00000000A990: 0ACCCDC5
	v_mul_f32_e32 v103, v197, v103                             // 00000000A994: 0ACECFC5
	v_cvt_pk_fp8_f32 v73, v100, v101                           // 00000000A998: D2A20049 0002CB64
	v_cvt_pk_fp8_f32 v73, v102, v103 op_sel:[0,0,1]            // 00000000A9A0: D2A24049 0002CF66
	v_mul_f32_e32 v104, v198, v104                             // 00000000A9A8: 0AD0D1C6
	v_mul_f32_e32 v105, v198, v105                             // 00000000A9AC: 0AD2D3C6
	v_mul_f32_e32 v106, v198, v106                             // 00000000A9B0: 0AD4D5C6
	v_mul_f32_e32 v107, v198, v107                             // 00000000A9B4: 0AD6D7C6
	v_cvt_pk_fp8_f32 v74, v104, v105                           // 00000000A9B8: D2A2004A 0002D368
	v_cvt_pk_fp8_f32 v74, v106, v107 op_sel:[0,0,1]            // 00000000A9C0: D2A2404A 0002D76A
	v_mul_f32_e32 v108, v199, v108                             // 00000000A9C8: 0AD8D9C7
	v_mul_f32_e32 v109, v199, v109                             // 00000000A9CC: 0ADADBC7
	v_mul_f32_e32 v110, v199, v110                             // 00000000A9D0: 0ADCDDC7
	v_mul_f32_e32 v111, v199, v111                             // 00000000A9D4: 0ADEDFC7
	v_cvt_pk_fp8_f32 v75, v108, v109                           // 00000000A9D8: D2A2004B 0002DB6C
	v_cvt_pk_fp8_f32 v75, v110, v111 op_sel:[0,0,1]            // 00000000A9E0: D2A2404B 0002DF6E
	v_mul_f32_e32 v112, v196, v112                             // 00000000A9E8: 0AE0E1C4
	v_mul_f32_e32 v113, v196, v113                             // 00000000A9EC: 0AE2E3C4
	v_mul_f32_e32 v114, v196, v114                             // 00000000A9F0: 0AE4E5C4
	v_mul_f32_e32 v115, v196, v115                             // 00000000A9F4: 0AE6E7C4
	v_cvt_pk_fp8_f32 v76, v112, v113                           // 00000000A9F8: D2A2004C 0002E370
	v_cvt_pk_fp8_f32 v76, v114, v115 op_sel:[0,0,1]            // 00000000AA00: D2A2404C 0002E772
	v_mul_f32_e32 v116, v197, v116                             // 00000000AA08: 0AE8E9C5
	v_mul_f32_e32 v117, v197, v117                             // 00000000AA0C: 0AEAEBC5
	v_mul_f32_e32 v118, v197, v118                             // 00000000AA10: 0AECEDC5
	v_mul_f32_e32 v119, v197, v119                             // 00000000AA14: 0AEEEFC5
	v_cvt_pk_fp8_f32 v77, v116, v117                           // 00000000AA18: D2A2004D 0002EB74
	v_cvt_pk_fp8_f32 v77, v118, v119 op_sel:[0,0,1]            // 00000000AA20: D2A2404D 0002EF76
	v_mul_f32_e32 v120, v198, v120                             // 00000000AA28: 0AF0F1C6
	v_mul_f32_e32 v121, v198, v121                             // 00000000AA2C: 0AF2F3C6
	v_mul_f32_e32 v122, v198, v122                             // 00000000AA30: 0AF4F5C6
	v_mul_f32_e32 v123, v198, v123                             // 00000000AA34: 0AF6F7C6
	v_cvt_pk_fp8_f32 v78, v120, v121                           // 00000000AA38: D2A2004E 0002F378
	v_cvt_pk_fp8_f32 v78, v122, v123 op_sel:[0,0,1]            // 00000000AA40: D2A2404E 0002F77A
	v_mul_f32_e32 v124, v199, v124                             // 00000000AA48: 0AF8F9C7
	v_mul_f32_e32 v125, v199, v125                             // 00000000AA4C: 0AFAFBC7
	v_mul_f32_e32 v126, v199, v126                             // 00000000AA50: 0AFCFDC7
	v_mul_f32_e32 v127, v199, v127                             // 00000000AA54: 0AFEFFC7
	v_cvt_pk_fp8_f32 v79, v124, v125                           // 00000000AA58: D2A2004F 0002FB7C
	v_cvt_pk_fp8_f32 v79, v126, v127 op_sel:[0,0,1]            // 00000000AA60: D2A2404F 0002FF7E
	v_rcp_f32_e32 v25, v196                                    // 00000000AA68: 7E3245C4
	v_rcp_f32_e32 v26, v197                                    // 00000000AA6C: 7E3445C5
	v_rcp_f32_e32 v27, v198                                    // 00000000AA70: 7E3645C6
	v_rcp_f32_e32 v28, v199                                    // 00000000AA74: 7E3845C7
	v_lshrrev_b32_e32 v60, 5, v0                               // 00000000AA78: 20780085
	v_lshlrev_b32_e32 v61, 6, v60                              // 00000000AA7C: 247A7886
	v_and_b32_e32 v60, 31, v0                                  // 00000000AA80: 2678009F
	v_lshrrev_b32_e32 v62, 4, v60                              // 00000000AA84: 207C7884
	v_add_u32_e32 v61, v62, v61                                // 00000000AA88: 687A7B3E
	v_and_b32_e32 v60, 15, v0                                  // 00000000AA8C: 2678008F
	v_lshlrev_b32_e32 v60, 1, v60                              // 00000000AA90: 24787881
	v_add_u32_e32 v61, v60, v61                                // 00000000AA94: 687A7B3C
	v_lshlrev_b32_e32 v60, 2, v61                              // 00000000AA98: 24787A82
	s_mov_b32 s56, 0                                           // 00000000AA9C: BEB80080
	s_lshr_b32 s57, s7, 1                                      // 00000000AAA0: 8F398107
	s_mul_i32 s57, s57, 0x200                                  // 00000000AAA4: 9239FF39 00000200
	s_add_u32 s56, s57, s56                                    // 00000000AAAC: 80383839
	s_and_b32 s57, s7, 1                                       // 00000000AAB0: 86398107
	s_mul_i32 s57, s57, 0x80                                   // 00000000AAB4: 9239FF39 00000080
	s_add_u32 s56, s57, s56                                    // 00000000AABC: 80383839
	v_add_u32_e64 v60, v60, s56                                // 00000000AAC0: D134003C 0000713C
	ds_write_b32 v60, v64 offset:41984                         // 00000000AAC8: D81AA400 0000403C
	ds_write_b32 v60, v65 offset:46080                         // 00000000AAD0: D81AB400 0000413C
	ds_write_b32 v60, v66 offset:50176                         // 00000000AAD8: D81AC400 0000423C
	ds_write_b32 v60, v67 offset:54272                         // 00000000AAE0: D81AD400 0000433C
	ds_write_b32 v60, v68 offset:43008                         // 00000000AAE8: D81AA800 0000443C
	ds_write_b32 v60, v69 offset:47104                         // 00000000AAF0: D81AB800 0000453C
	ds_write_b32 v60, v70 offset:51200                         // 00000000AAF8: D81AC800 0000463C
	ds_write_b32 v60, v71 offset:55296                         // 00000000AB00: D81AD800 0000473C
	ds_write_b32 v60, v72 offset:44032                         // 00000000AB08: D81AAC00 0000483C
	ds_write_b32 v60, v73 offset:48128                         // 00000000AB10: D81ABC00 0000493C
	ds_write_b32 v60, v74 offset:52224                         // 00000000AB18: D81ACC00 00004A3C
	ds_write_b32 v60, v75 offset:56320                         // 00000000AB20: D81ADC00 00004B3C
	ds_write_b32 v60, v76 offset:45056                         // 00000000AB28: D81AB000 00004C3C
	ds_write_b32 v60, v77 offset:49152                         // 00000000AB30: D81AC000 00004D3C
	ds_write_b32 v60, v78 offset:53248                         // 00000000AB38: D81AD000 00004E3C
	ds_write_b32 v60, v79 offset:57344                         // 00000000AB40: D81AE000 00004F3C
	s_waitcnt lgkmcnt(0)                                       // 00000000AB48: BF8CC07F
	s_barrier                                                  // 00000000AB4C: BF8A0000
	v_and_b32_e32 v60, 31, v0                                  // 00000000AB50: 2678009F
	v_lshrrev_b32_e32 v60, 4, v60                              // 00000000AB54: 20787884
	v_lshlrev_b32_e32 v61, 5, v60                              // 00000000AB58: 247A7885
	v_lshrrev_b32_e32 v60, 5, v0                               // 00000000AB5C: 20780085
	v_lshlrev_b32_e32 v60, 7, v60                              // 00000000AB60: 24787887
	v_add_u32_e32 v61, v60, v61                                // 00000000AB64: 687A7B3C
	v_and_b32_e32 v60, 15, v0                                  // 00000000AB68: 2678008F
	v_lshlrev_b32_e32 v60, 1, v60                              // 00000000AB6C: 24787881
	v_add_u32_e32 v61, v60, v61                                // 00000000AB70: 687A7B3C
	v_lshlrev_b32_e32 v60, 2, v61                              // 00000000AB74: 24787A82
	ds_read_b64 a[128:129], v60 offset:41984                   // 00000000AB78: DAECA400 8000003C
	ds_read_b64 a[130:131], v60 offset:42240                   // 00000000AB80: DAECA500 8200003C
	ds_read_b64 a[132:133], v60 offset:43008                   // 00000000AB88: DAECA800 8400003C
	ds_read_b64 a[134:135], v60 offset:43264                   // 00000000AB90: DAECA900 8600003C
	ds_read_b64 a[136:137], v60 offset:44032                   // 00000000AB98: DAECAC00 8800003C
	ds_read_b64 a[138:139], v60 offset:44288                   // 00000000ABA0: DAECAD00 8A00003C
	ds_read_b64 a[140:141], v60 offset:45056                   // 00000000ABA8: DAECB000 8C00003C
	ds_read_b64 a[142:143], v60 offset:45312                   // 00000000ABB0: DAECB100 8E00003C
	ds_read_b64 a[144:145], v60 offset:46080                   // 00000000ABB8: DAECB400 9000003C
	ds_read_b64 a[146:147], v60 offset:46336                   // 00000000ABC0: DAECB500 9200003C
	ds_read_b64 a[148:149], v60 offset:47104                   // 00000000ABC8: DAECB800 9400003C
	ds_read_b64 a[150:151], v60 offset:47360                   // 00000000ABD0: DAECB900 9600003C
	ds_read_b64 a[152:153], v60 offset:48128                   // 00000000ABD8: DAECBC00 9800003C
	ds_read_b64 a[154:155], v60 offset:48384                   // 00000000ABE0: DAECBD00 9A00003C
	ds_read_b64 a[156:157], v60 offset:49152                   // 00000000ABE8: DAECC000 9C00003C
	ds_read_b64 a[158:159], v60 offset:49408                   // 00000000ABF0: DAECC100 9E00003C
	ds_read_b64 a[160:161], v60 offset:50176                   // 00000000ABF8: DAECC400 A000003C
	ds_read_b64 a[162:163], v60 offset:50432                   // 00000000AC00: DAECC500 A200003C
	ds_read_b64 a[164:165], v60 offset:51200                   // 00000000AC08: DAECC800 A400003C
	ds_read_b64 a[166:167], v60 offset:51456                   // 00000000AC10: DAECC900 A600003C
	ds_read_b64 a[168:169], v60 offset:52224                   // 00000000AC18: DAECCC00 A800003C
	ds_read_b64 a[170:171], v60 offset:52480                   // 00000000AC20: DAECCD00 AA00003C
	ds_read_b64 a[172:173], v60 offset:53248                   // 00000000AC28: DAECD000 AC00003C
	ds_read_b64 a[174:175], v60 offset:53504                   // 00000000AC30: DAECD100 AE00003C
	ds_read_b64 a[176:177], v60 offset:54272                   // 00000000AC38: DAECD400 B000003C
	ds_read_b64 a[178:179], v60 offset:54528                   // 00000000AC40: DAECD500 B200003C
	ds_read_b64 a[180:181], v60 offset:55296                   // 00000000AC48: DAECD800 B400003C
	ds_read_b64 a[182:183], v60 offset:55552                   // 00000000AC50: DAECD900 B600003C
	ds_read_b64 a[184:185], v60 offset:56320                   // 00000000AC58: DAECDC00 B800003C
	ds_read_b64 a[186:187], v60 offset:56576                   // 00000000AC60: DAECDD00 BA00003C
	ds_read_b64 a[188:189], v60 offset:57344                   // 00000000AC68: DAECE000 BC00003C
	ds_read_b64 a[190:191], v60 offset:57600                   // 00000000AC70: DAECE100 BE00003C
	v_lshlrev_b32_e32 v60, 2, v0                               // 00000000AC78: 24780082
	s_mul_i32 s56, s78, s67                                    // 00000000AC7C: 9238434E
	v_add_u32_e64 v96, v60, s56                                // 00000000AC80: D1340060 0000713C
	v_mov_b32_e32 v97, 0                                       // 00000000AC88: 7EC20280
	s_mul_i32 s56, s79, s67                                    // 00000000AC8C: 9238434F
	v_add_u32_e64 v98, v60, s56                                // 00000000AC90: D1340062 0000713C
	v_mov_b32_e32 v99, 0                                       // 00000000AC98: 7EC60280
	s_mul_i32 s56, s80, s67                                    // 00000000AC9C: 92384350
	v_add_u32_e64 v100, v60, s56                               // 00000000ACA0: D1340064 0000713C
	v_mov_b32_e32 v101, 0                                      // 00000000ACA8: 7ECA0280
	s_mul_i32 s56, s81, s67                                    // 00000000ACAC: 92384351
	v_add_u32_e64 v102, v60, s56                               // 00000000ACB0: D1340066 0000713C
	v_mov_b32_e32 v103, 0                                      // 00000000ACB8: 7ECE0280
	s_mul_i32 s56, s82, s67                                    // 00000000ACBC: 92384352
	v_add_u32_e64 v104, v60, s56                               // 00000000ACC0: D1340068 0000713C
	v_mov_b32_e32 v105, 0                                      // 00000000ACC8: 7ED20280
	s_mul_i32 s56, s83, s67                                    // 00000000ACCC: 92384353
	v_add_u32_e64 v106, v60, s56                               // 00000000ACD0: D134006A 0000713C
	v_mov_b32_e32 v107, 0                                      // 00000000ACD8: 7ED60280
	s_mul_i32 s56, s84, s67                                    // 00000000ACDC: 92384354
	v_add_u32_e64 v108, v60, s56                               // 00000000ACE0: D134006C 0000713C
	v_mov_b32_e32 v109, 0                                      // 00000000ACE8: 7EDA0280
	s_mul_i32 s56, s85, s67                                    // 00000000ACEC: 92384355
	v_add_u32_e64 v110, v60, s56                               // 00000000ACF0: D134006E 0000713C
	v_mov_b32_e32 v111, 0                                      // 00000000ACF8: 7EDE0280
	s_mul_i32 s56, s86, s67                                    // 00000000ACFC: 92384356
	v_add_u32_e64 v112, v60, s56                               // 00000000AD00: D1340070 0000713C
	v_mov_b32_e32 v113, 0                                      // 00000000AD08: 7EE20280
	s_mul_i32 s56, s87, s67                                    // 00000000AD0C: 92384357
	v_add_u32_e64 v114, v60, s56                               // 00000000AD10: D1340072 0000713C
	v_mov_b32_e32 v115, 0                                      // 00000000AD18: 7EE60280
	s_mul_i32 s56, s88, s67                                    // 00000000AD1C: 92384358
	v_add_u32_e64 v116, v60, s56                               // 00000000AD20: D1340074 0000713C
	v_mov_b32_e32 v117, 0                                      // 00000000AD28: 7EEA0280
	s_mul_i32 s56, s89, s67                                    // 00000000AD2C: 92384359
	v_add_u32_e64 v118, v60, s56                               // 00000000AD30: D1340076 0000713C
	v_mov_b32_e32 v119, 0                                      // 00000000AD38: 7EEE0280
	s_mul_i32 s56, s90, s67                                    // 00000000AD3C: 9238435A
	v_add_u32_e64 v120, v60, s56                               // 00000000AD40: D1340078 0000713C
	v_mov_b32_e32 v121, 0                                      // 00000000AD48: 7EF20280
	s_mul_i32 s56, s91, s67                                    // 00000000AD4C: 9238435B
	v_add_u32_e64 v122, v60, s56                               // 00000000AD50: D134007A 0000713C
	v_mov_b32_e32 v123, 0                                      // 00000000AD58: 7EF60280
	s_mul_i32 s56, s92, s67                                    // 00000000AD5C: 9238435C
	v_add_u32_e64 v124, v60, s56                               // 00000000AD60: D134007C 0000713C
	v_mov_b32_e32 v125, 0                                      // 00000000AD68: 7EFA0280
	s_mul_i32 s56, s93, s67                                    // 00000000AD6C: 9238435D
	v_add_u32_e64 v126, v60, s56                               // 00000000AD70: D134007E 0000713C
	v_mov_b32_e32 v127, 0                                      // 00000000AD78: 7EFE0280
	s_add_u32 s12, s52, s12                                    // 00000000AD7C: 800C0C34
	s_addc_u32 s13, 0, s13                                     // 00000000AD80: 820D0D80
	s_add_u32 s16, s75, s16                                    // 00000000AD84: 8010104B
	s_addc_u32 s17, 0, s17                                     // 00000000AD88: 82111180
	s_mov_b32 s76, 0                                           // 00000000AD8C: BECC0080
	s_waitcnt vmcnt(0) expcnt(0) lgkmcnt(0)                    // 00000000AD90: BF8C0000

000000000000ad94 <label_1FE5>:
	s_waitcnt vmcnt(12)                                        // 00000000AD94: BF8C0F7C
	s_barrier                                                  // 00000000AD98: BF8A0000
	v_mfma_f32_16x16x128_f8f6f4 v[128:131], a[0:7], a[128:135], 0// 00000000AD9C: D3AD0080 1A030100
	buffer_load_dwordx4 a[64:67], v51, s[12:15], 0 offen       // 00000000ADA4: E05C1000 80834033
	buffer_load_dwordx4 a[68:71], v51, s[12:15], 0 offen offset:1024// 00000000ADAC: E05C1400 80834433
	v_mfma_f32_16x16x128_f8f6f4 v[132:135], a[0:7], a[144:151], 0// 00000000ADB4: D3AD0084 1A032100
	v_mfma_f32_16x16x128_f8f6f4 v[136:139], a[0:7], a[160:167], 0// 00000000ADBC: D3AD0088 1A034100
	buffer_load_dwordx4 a[72:75], v52, s[12:15], 0 offen       // 00000000ADC4: E05C1000 80834834
	buffer_load_dwordx4 a[76:79], v52, s[12:15], 0 offen offset:1024// 00000000ADCC: E05C1400 80834C34
	buffer_load_dword v38, v8, s[16:19], 0 offen               // 00000000ADD4: E0501000 80042608
	v_mfma_f32_16x16x128_f8f6f4 v[140:143], a[0:7], a[176:183], 0// 00000000ADDC: D3AD008C 1A036100
	s_waitcnt vmcnt(13)                                        // 00000000ADE4: BF8C0F7D
	v_mfma_f32_16x16x128_f8f6f4 v[144:147], a[8:15], a[128:135], 0// 00000000ADE8: D3AD0090 1A030108
	buffer_load_dwordx4 a[80:83], v53, s[12:15], 0 offen       // 00000000ADF0: E05C1000 80835035
	buffer_load_dwordx4 a[84:87], v53, s[12:15], 0 offen offset:1024// 00000000ADF8: E05C1400 80835435
	v_mfma_f32_16x16x128_f8f6f4 v[148:151], a[8:15], a[144:151], 0// 00000000AE00: D3AD0094 1A032108
	v_mfma_f32_16x16x128_f8f6f4 v[152:155], a[8:15], a[160:167], 0// 00000000AE08: D3AD0098 1A034108
	buffer_load_dwordx4 a[88:91], v54, s[12:15], 0 offen       // 00000000AE10: E05C1000 80835836
	buffer_load_dwordx4 a[92:95], v54, s[12:15], 0 offen offset:1024// 00000000AE18: E05C1400 80835C36
	s_add_u32 s12, s74, s12                                    // 00000000AE20: 800C0C4A
	s_addc_u32 s13, 0, s13                                     // 00000000AE24: 820D0D80
	v_mfma_f32_16x16x128_f8f6f4 v[156:159], a[8:15], a[176:183], 0// 00000000AE28: D3AD009C 1A036108
	s_waitcnt vmcnt(13)                                        // 00000000AE30: BF8C0F7D
	v_mfma_f32_16x16x128_f8f6f4 v[160:163], a[16:23], a[128:135], 0// 00000000AE34: D3AD00A0 1A030110
	buffer_load_dwordx4 a[96:99], v51, s[12:15], 0 offen       // 00000000AE3C: E05C1000 80836033
	buffer_load_dwordx4 a[100:103], v51, s[12:15], 0 offen offset:1024// 00000000AE44: E05C1400 80836433
	v_mfma_f32_16x16x128_f8f6f4 v[164:167], a[16:23], a[144:151], 0// 00000000AE4C: D3AD00A4 1A032110
	v_mfma_f32_16x16x128_f8f6f4 v[168:171], a[16:23], a[160:167], 0// 00000000AE54: D3AD00A8 1A034110
	buffer_load_dwordx4 a[104:107], v52, s[12:15], 0 offen     // 00000000AE5C: E05C1000 80836834
	buffer_load_dwordx4 a[108:111], v52, s[12:15], 0 offen offset:1024// 00000000AE64: E05C1400 80836C34
	v_mfma_f32_16x16x128_f8f6f4 v[172:175], a[16:23], a[176:183], 0// 00000000AE6C: D3AD00AC 1A036110
	s_waitcnt vmcnt(13)                                        // 00000000AE74: BF8C0F7D
	v_mfma_f32_16x16x128_f8f6f4 v[176:179], a[24:31], a[128:135], 0// 00000000AE78: D3AD00B0 1A030118
	buffer_load_dwordx4 a[112:115], v53, s[12:15], 0 offen     // 00000000AE80: E05C1000 80837035
	buffer_load_dwordx4 a[116:119], v53, s[12:15], 0 offen offset:1024// 00000000AE88: E05C1400 80837435
	v_mfma_f32_16x16x128_f8f6f4 v[180:183], a[24:31], a[144:151], 0// 00000000AE90: D3AD00B4 1A032118
	v_mfma_f32_16x16x128_f8f6f4 v[184:187], a[24:31], a[160:167], 0// 00000000AE98: D3AD00B8 1A034118
	buffer_load_dwordx4 a[120:123], v54, s[12:15], 0 offen     // 00000000AEA0: E05C1000 80837836
	buffer_load_dwordx4 a[124:127], v54, s[12:15], 0 offen offset:1024// 00000000AEA8: E05C1400 80837C36
	v_mfma_f32_16x16x128_f8f6f4 v[188:191], a[24:31], a[176:183], 0// 00000000AEB0: D3AD00BC 1A036118
	v_mul_f32_dpp v60, v37, v21 row_newbcast:0 row_mask:0xf bank_mask:0xf// 00000000AEB8: 0A782AFA FF015025
	v_mov_b32_e32 v61, v60                                     // 00000000AEC0: 7E7A033C
	v_pk_mul_f32 v[128:129], v[60:61], v[128:129]              // 00000000AEC4: D3B14080 1803013C
	v_pk_mul_f32 v[130:131], v[60:61], v[130:131]              // 00000000AECC: D3B14082 1803053C
	v_pk_mul_f32 v[144:145], v[60:61], v[144:145]              // 00000000AED4: D3B14090 1803213C
	v_pk_mul_f32 v[146:147], v[60:61], v[146:147]              // 00000000AEDC: D3B14092 1803253C
	v_mul_f32_dpp v60, v37, v21 row_newbcast:1 row_mask:0xf bank_mask:0xf// 00000000AEE4: 0A782AFA FF015125
	v_mov_b32_e32 v61, v60                                     // 00000000AEEC: 7E7A033C
	v_pk_mul_f32 v[160:161], v[60:61], v[160:161]              // 00000000AEF0: D3B140A0 1803413C
	v_pk_mul_f32 v[162:163], v[60:61], v[162:163]              // 00000000AEF8: D3B140A2 1803453C
	v_pk_mul_f32 v[176:177], v[60:61], v[176:177]              // 00000000AF00: D3B140B0 1803613C
	v_pk_mul_f32 v[178:179], v[60:61], v[178:179]              // 00000000AF08: D3B140B2 1803653C
	v_mul_f32_dpp v60, v37, v22 row_newbcast:0 row_mask:0xf bank_mask:0xf// 00000000AF10: 0A782CFA FF015025
	v_mov_b32_e32 v61, v60                                     // 00000000AF18: 7E7A033C
	v_pk_mul_f32 v[132:133], v[60:61], v[132:133]              // 00000000AF1C: D3B14084 1803093C
	v_pk_mul_f32 v[134:135], v[60:61], v[134:135]              // 00000000AF24: D3B14086 18030D3C
	v_pk_mul_f32 v[148:149], v[60:61], v[148:149]              // 00000000AF2C: D3B14094 1803293C
	v_pk_mul_f32 v[150:151], v[60:61], v[150:151]              // 00000000AF34: D3B14096 18032D3C
	v_mul_f32_dpp v60, v37, v22 row_newbcast:1 row_mask:0xf bank_mask:0xf// 00000000AF3C: 0A782CFA FF015125
	v_mov_b32_e32 v61, v60                                     // 00000000AF44: 7E7A033C
	v_pk_mul_f32 v[164:165], v[60:61], v[164:165]              // 00000000AF48: D3B140A4 1803493C
	v_pk_mul_f32 v[166:167], v[60:61], v[166:167]              // 00000000AF50: D3B140A6 18034D3C
	v_pk_mul_f32 v[180:181], v[60:61], v[180:181]              // 00000000AF58: D3B140B4 1803693C
	v_pk_mul_f32 v[182:183], v[60:61], v[182:183]              // 00000000AF60: D3B140B6 18036D3C
	v_mul_f32_dpp v60, v37, v23 row_newbcast:0 row_mask:0xf bank_mask:0xf// 00000000AF68: 0A782EFA FF015025
	v_mov_b32_e32 v61, v60                                     // 00000000AF70: 7E7A033C
	v_pk_mul_f32 v[136:137], v[60:61], v[136:137]              // 00000000AF74: D3B14088 1803113C
	v_pk_mul_f32 v[138:139], v[60:61], v[138:139]              // 00000000AF7C: D3B1408A 1803153C
	v_pk_mul_f32 v[152:153], v[60:61], v[152:153]              // 00000000AF84: D3B14098 1803313C
	v_pk_mul_f32 v[154:155], v[60:61], v[154:155]              // 00000000AF8C: D3B1409A 1803353C
	v_mul_f32_dpp v60, v37, v23 row_newbcast:1 row_mask:0xf bank_mask:0xf// 00000000AF94: 0A782EFA FF015125
	v_mov_b32_e32 v61, v60                                     // 00000000AF9C: 7E7A033C
	v_pk_mul_f32 v[168:169], v[60:61], v[168:169]              // 00000000AFA0: D3B140A8 1803513C
	v_pk_mul_f32 v[170:171], v[60:61], v[170:171]              // 00000000AFA8: D3B140AA 1803553C
	v_pk_mul_f32 v[184:185], v[60:61], v[184:185]              // 00000000AFB0: D3B140B8 1803713C
	v_pk_mul_f32 v[186:187], v[60:61], v[186:187]              // 00000000AFB8: D3B140BA 1803753C
	v_mul_f32_dpp v60, v37, v24 row_newbcast:0 row_mask:0xf bank_mask:0xf// 00000000AFC0: 0A7830FA FF015025
	v_mov_b32_e32 v61, v60                                     // 00000000AFC8: 7E7A033C
	v_pk_mul_f32 v[140:141], v[60:61], v[140:141]              // 00000000AFCC: D3B1408C 1803193C
	v_pk_mul_f32 v[142:143], v[60:61], v[142:143]              // 00000000AFD4: D3B1408E 18031D3C
	v_pk_mul_f32 v[156:157], v[60:61], v[156:157]              // 00000000AFDC: D3B1409C 1803393C
	v_pk_mul_f32 v[158:159], v[60:61], v[158:159]              // 00000000AFE4: D3B1409E 18033D3C
	v_mul_f32_dpp v60, v37, v24 row_newbcast:1 row_mask:0xf bank_mask:0xf// 00000000AFEC: 0A7830FA FF015125
	v_mov_b32_e32 v61, v60                                     // 00000000AFF4: 7E7A033C
	v_pk_mul_f32 v[172:173], v[60:61], v[172:173]              // 00000000AFF8: D3B140AC 1803593C
	v_pk_mul_f32 v[174:175], v[60:61], v[174:175]              // 00000000B000: D3B140AE 18035D3C
	v_pk_mul_f32 v[188:189], v[60:61], v[188:189]              // 00000000B008: D3B140BC 1803793C
	v_pk_mul_f32 v[190:191], v[60:61], v[190:191]              // 00000000B010: D3B140BE 18037D3C
	s_waitcnt vmcnt(13)                                        // 00000000B018: BF8C0F7D
	v_mfma_f32_16x16x128_f8f6f4 v[192:195], a[32:39], a[136:143], 0// 00000000B01C: D3AD00C0 1A031120
	v_mfma_f32_16x16x128_f8f6f4 v[196:199], a[32:39], a[152:159], 0// 00000000B024: D3AD00C4 1A033120
	v_mfma_f32_16x16x128_f8f6f4 v[200:203], a[32:39], a[168:175], 0// 00000000B02C: D3AD00C8 1A035120
	v_mfma_f32_16x16x128_f8f6f4 v[204:207], a[32:39], a[184:191], 0// 00000000B034: D3AD00CC 1A037120
	s_waitcnt vmcnt(13)                                        // 00000000B03C: BF8C0F7D
	v_mfma_f32_16x16x128_f8f6f4 v[208:211], a[40:47], a[136:143], 0// 00000000B040: D3AD00D0 1A031128
	v_mfma_f32_16x16x128_f8f6f4 v[212:215], a[40:47], a[152:159], 0// 00000000B048: D3AD00D4 1A033128
	v_mfma_f32_16x16x128_f8f6f4 v[216:219], a[40:47], a[168:175], 0// 00000000B050: D3AD00D8 1A035128
	v_mfma_f32_16x16x128_f8f6f4 v[220:223], a[40:47], a[184:191], 0// 00000000B058: D3AD00DC 1A037128
	s_waitcnt vmcnt(13)                                        // 00000000B060: BF8C0F7D
	v_mfma_f32_16x16x128_f8f6f4 v[224:227], a[48:55], a[136:143], 0// 00000000B064: D3AD00E0 1A031130
	v_mfma_f32_16x16x128_f8f6f4 v[228:231], a[48:55], a[152:159], 0// 00000000B06C: D3AD00E4 1A033130
	v_mfma_f32_16x16x128_f8f6f4 v[232:235], a[48:55], a[168:175], 0// 00000000B074: D3AD00E8 1A035130
	v_mfma_f32_16x16x128_f8f6f4 v[236:239], a[48:55], a[184:191], 0// 00000000B07C: D3AD00EC 1A037130
	s_waitcnt vmcnt(13)                                        // 00000000B084: BF8C0F7D
	v_mfma_f32_16x16x128_f8f6f4 v[240:243], a[56:63], a[136:143], 0// 00000000B088: D3AD00F0 1A031138
	v_mfma_f32_16x16x128_f8f6f4 v[244:247], a[56:63], a[152:159], 0// 00000000B090: D3AD00F4 1A033138
	v_mfma_f32_16x16x128_f8f6f4 v[248:251], a[56:63], a[168:175], 0// 00000000B098: D3AD00F8 1A035138
	v_mfma_f32_16x16x128_f8f6f4 v[252:255], a[56:63], a[184:191], 0// 00000000B0A0: D3AD00FC 1A037138
	v_mul_f32_dpp v60, v37, v25 row_newbcast:2 row_mask:0xf bank_mask:0xf// 00000000B0A8: 0A7832FA FF015225
	v_mov_b32_e32 v61, v60                                     // 00000000B0B0: 7E7A033C
	v_pk_fma_f32 v[128:129], v[192:193], v[60:61], v[128:129]  // 00000000B0B4: D3B04080 1E0279C0
	v_pk_fma_f32 v[130:131], v[194:195], v[60:61], v[130:131]  // 00000000B0BC: D3B04082 1E0A79C2
	v_pk_fma_f32 v[144:145], v[208:209], v[60:61], v[144:145]  // 00000000B0C4: D3B04090 1E4279D0
	v_pk_fma_f32 v[146:147], v[210:211], v[60:61], v[146:147]  // 00000000B0CC: D3B04092 1E4A79D2
	v_mul_f32_dpp v60, v37, v25 row_newbcast:3 row_mask:0xf bank_mask:0xf// 00000000B0D4: 0A7832FA FF015325
	v_mov_b32_e32 v61, v60                                     // 00000000B0DC: 7E7A033C
	v_pk_fma_f32 v[160:161], v[224:225], v[60:61], v[160:161]  // 00000000B0E0: D3B040A0 1E8279E0
	v_pk_fma_f32 v[162:163], v[226:227], v[60:61], v[162:163]  // 00000000B0E8: D3B040A2 1E8A79E2
	v_pk_fma_f32 v[176:177], v[240:241], v[60:61], v[176:177]  // 00000000B0F0: D3B040B0 1EC279F0
	v_pk_fma_f32 v[178:179], v[242:243], v[60:61], v[178:179]  // 00000000B0F8: D3B040B2 1ECA79F2
	v_mul_f32_dpp v60, v37, v26 row_newbcast:2 row_mask:0xf bank_mask:0xf// 00000000B100: 0A7834FA FF015225
	v_mov_b32_e32 v61, v60                                     // 00000000B108: 7E7A033C
	v_pk_fma_f32 v[132:133], v[196:197], v[60:61], v[132:133]  // 00000000B10C: D3B04084 1E1279C4
	v_pk_fma_f32 v[134:135], v[198:199], v[60:61], v[134:135]  // 00000000B114: D3B04086 1E1A79C6
	v_pk_fma_f32 v[148:149], v[212:213], v[60:61], v[148:149]  // 00000000B11C: D3B04094 1E5279D4
	v_pk_fma_f32 v[150:151], v[214:215], v[60:61], v[150:151]  // 00000000B124: D3B04096 1E5A79D6
	v_mul_f32_dpp v60, v37, v26 row_newbcast:3 row_mask:0xf bank_mask:0xf// 00000000B12C: 0A7834FA FF015325
	v_mov_b32_e32 v61, v60                                     // 00000000B134: 7E7A033C
	v_pk_fma_f32 v[164:165], v[228:229], v[60:61], v[164:165]  // 00000000B138: D3B040A4 1E9279E4
	v_pk_fma_f32 v[166:167], v[230:231], v[60:61], v[166:167]  // 00000000B140: D3B040A6 1E9A79E6
	v_pk_fma_f32 v[180:181], v[244:245], v[60:61], v[180:181]  // 00000000B148: D3B040B4 1ED279F4
	v_pk_fma_f32 v[182:183], v[246:247], v[60:61], v[182:183]  // 00000000B150: D3B040B6 1EDA79F6
	v_mul_f32_dpp v60, v37, v27 row_newbcast:2 row_mask:0xf bank_mask:0xf// 00000000B158: 0A7836FA FF015225
	v_mov_b32_e32 v61, v60                                     // 00000000B160: 7E7A033C
	v_pk_fma_f32 v[136:137], v[200:201], v[60:61], v[136:137]  // 00000000B164: D3B04088 1E2279C8
	v_pk_fma_f32 v[138:139], v[202:203], v[60:61], v[138:139]  // 00000000B16C: D3B0408A 1E2A79CA
	v_pk_fma_f32 v[152:153], v[216:217], v[60:61], v[152:153]  // 00000000B174: D3B04098 1E6279D8
	v_pk_fma_f32 v[154:155], v[218:219], v[60:61], v[154:155]  // 00000000B17C: D3B0409A 1E6A79DA
	v_mul_f32_dpp v60, v37, v27 row_newbcast:3 row_mask:0xf bank_mask:0xf// 00000000B184: 0A7836FA FF015325
	v_mov_b32_e32 v61, v60                                     // 00000000B18C: 7E7A033C
	v_pk_fma_f32 v[168:169], v[232:233], v[60:61], v[168:169]  // 00000000B190: D3B040A8 1EA279E8
	v_pk_fma_f32 v[170:171], v[234:235], v[60:61], v[170:171]  // 00000000B198: D3B040AA 1EAA79EA
	v_pk_fma_f32 v[184:185], v[248:249], v[60:61], v[184:185]  // 00000000B1A0: D3B040B8 1EE279F8
	v_pk_fma_f32 v[186:187], v[250:251], v[60:61], v[186:187]  // 00000000B1A8: D3B040BA 1EEA79FA
	v_mul_f32_dpp v60, v37, v28 row_newbcast:2 row_mask:0xf bank_mask:0xf// 00000000B1B0: 0A7838FA FF015225
	v_mov_b32_e32 v61, v60                                     // 00000000B1B8: 7E7A033C
	v_pk_fma_f32 v[140:141], v[204:205], v[60:61], v[140:141]  // 00000000B1BC: D3B0408C 1E3279CC
	v_pk_fma_f32 v[142:143], v[206:207], v[60:61], v[142:143]  // 00000000B1C4: D3B0408E 1E3A79CE
	v_pk_fma_f32 v[156:157], v[220:221], v[60:61], v[156:157]  // 00000000B1CC: D3B0409C 1E7279DC
	v_pk_fma_f32 v[158:159], v[222:223], v[60:61], v[158:159]  // 00000000B1D4: D3B0409E 1E7A79DE
	v_mul_f32_dpp v60, v37, v28 row_newbcast:3 row_mask:0xf bank_mask:0xf// 00000000B1DC: 0A7838FA FF015325
	v_mov_b32_e32 v61, v60                                     // 00000000B1E4: 7E7A033C
	v_pk_fma_f32 v[172:173], v[236:237], v[60:61], v[172:173]  // 00000000B1E8: D3B040AC 1EB279EC
	v_pk_fma_f32 v[174:175], v[238:239], v[60:61], v[174:175]  // 00000000B1F0: D3B040AE 1EBA79EE
	v_pk_fma_f32 v[188:189], v[252:253], v[60:61], v[188:189]  // 00000000B1F8: D3B040BC 1EF279FC
	v_pk_fma_f32 v[190:191], v[254:255], v[60:61], v[190:191]  // 00000000B200: D3B040BE 1EFA79FE
	s_add_u32 s56, 0x200, s76                                  // 00000000B208: 80384CFF 00000200
	s_cmp_lt_u32 s56, s77                                      // 00000000B210: BF0A4D38
	s_cselect_b32 s52, s52, 0                                  // 00000000B214: 85348034
	s_cselect_b32 s74, s74, 0                                  // 00000000B218: 854A804A
	s_cselect_b32 s75, s75, 0                                  // 00000000B21C: 854B804B
	s_add_u32 s12, s52, s12                                    // 00000000B220: 800C0C34
	s_addc_u32 s13, 0, s13                                     // 00000000B224: 820D0D80
	s_add_u32 s16, s75, s16                                    // 00000000B228: 8010104B
	s_addc_u32 s17, 0, s17                                     // 00000000B22C: 82111180
	v_mov_b32_e32 v60, v39                                     // 00000000B230: 7E780327
	v_mov_b32_e32 v61, v39                                     // 00000000B234: 7E7A0327
	v_pk_mul_f32 v[128:129], v[60:61], v[128:129]              // 00000000B238: D3B14080 1803013C
	v_pk_mul_f32 v[130:131], v[60:61], v[130:131]              // 00000000B240: D3B14082 1803053C
	v_pk_mul_f32 v[144:145], v[60:61], v[144:145]              // 00000000B248: D3B14090 1803213C
	v_pk_mul_f32 v[146:147], v[60:61], v[146:147]              // 00000000B250: D3B14092 1803253C
	v_pk_mul_f32 v[160:161], v[60:61], v[160:161]              // 00000000B258: D3B140A0 1803413C
	v_pk_mul_f32 v[162:163], v[60:61], v[162:163]              // 00000000B260: D3B140A2 1803453C
	v_pk_mul_f32 v[176:177], v[60:61], v[176:177]              // 00000000B268: D3B140B0 1803613C
	v_pk_mul_f32 v[178:179], v[60:61], v[178:179]              // 00000000B270: D3B140B2 1803653C
	v_mov_b32_e32 v60, v40                                     // 00000000B278: 7E780328
	v_mov_b32_e32 v61, v40                                     // 00000000B27C: 7E7A0328
	v_pk_mul_f32 v[132:133], v[60:61], v[132:133]              // 00000000B280: D3B14084 1803093C
	v_pk_mul_f32 v[134:135], v[60:61], v[134:135]              // 00000000B288: D3B14086 18030D3C
	v_pk_mul_f32 v[148:149], v[60:61], v[148:149]              // 00000000B290: D3B14094 1803293C
	v_pk_mul_f32 v[150:151], v[60:61], v[150:151]              // 00000000B298: D3B14096 18032D3C
	v_pk_mul_f32 v[164:165], v[60:61], v[164:165]              // 00000000B2A0: D3B140A4 1803493C
	v_pk_mul_f32 v[166:167], v[60:61], v[166:167]              // 00000000B2A8: D3B140A6 18034D3C
	v_pk_mul_f32 v[180:181], v[60:61], v[180:181]              // 00000000B2B0: D3B140B4 1803693C
	v_pk_mul_f32 v[182:183], v[60:61], v[182:183]              // 00000000B2B8: D3B140B6 18036D3C
	v_mov_b32_e32 v60, v41                                     // 00000000B2C0: 7E780329
	v_mov_b32_e32 v61, v41                                     // 00000000B2C4: 7E7A0329
	v_pk_mul_f32 v[136:137], v[60:61], v[136:137]              // 00000000B2C8: D3B14088 1803113C
	v_pk_mul_f32 v[138:139], v[60:61], v[138:139]              // 00000000B2D0: D3B1408A 1803153C
	v_pk_mul_f32 v[152:153], v[60:61], v[152:153]              // 00000000B2D8: D3B14098 1803313C
	v_pk_mul_f32 v[154:155], v[60:61], v[154:155]              // 00000000B2E0: D3B1409A 1803353C
	v_pk_mul_f32 v[168:169], v[60:61], v[168:169]              // 00000000B2E8: D3B140A8 1803513C
	v_pk_mul_f32 v[170:171], v[60:61], v[170:171]              // 00000000B2F0: D3B140AA 1803553C
	v_pk_mul_f32 v[184:185], v[60:61], v[184:185]              // 00000000B2F8: D3B140B8 1803713C
	v_pk_mul_f32 v[186:187], v[60:61], v[186:187]              // 00000000B300: D3B140BA 1803753C
	v_mov_b32_e32 v60, v42                                     // 00000000B308: 7E78032A
	v_mov_b32_e32 v61, v42                                     // 00000000B30C: 7E7A032A
	v_pk_mul_f32 v[140:141], v[60:61], v[140:141]              // 00000000B310: D3B1408C 1803193C
	v_pk_mul_f32 v[142:143], v[60:61], v[142:143]              // 00000000B318: D3B1408E 18031D3C
	v_pk_mul_f32 v[156:157], v[60:61], v[156:157]              // 00000000B320: D3B1409C 1803393C
	v_pk_mul_f32 v[158:159], v[60:61], v[158:159]              // 00000000B328: D3B1409E 18033D3C
	v_pk_mul_f32 v[172:173], v[60:61], v[172:173]              // 00000000B330: D3B140AC 1803593C
	v_pk_mul_f32 v[174:175], v[60:61], v[174:175]              // 00000000B338: D3B140AE 18035D3C
	v_pk_mul_f32 v[188:189], v[60:61], v[188:189]              // 00000000B340: D3B140BC 1803793C
	v_pk_mul_f32 v[190:191], v[60:61], v[190:191]              // 00000000B348: D3B140BE 18037D3C
	v_cvt_pk_bf16_f32 v128, v128, v129                         // 00000000B350: D2680080 00030380
	v_cvt_pk_bf16_f32 v129, v130, v131                         // 00000000B358: D2680081 00030782
	v_cvt_pk_bf16_f32 v130, v132, v133                         // 00000000B360: D2680082 00030B84
	v_cvt_pk_bf16_f32 v131, v134, v135                         // 00000000B368: D2680083 00030F86
	v_cvt_pk_bf16_f32 v132, v136, v137                         // 00000000B370: D2680084 00031388
	v_cvt_pk_bf16_f32 v133, v138, v139                         // 00000000B378: D2680085 0003178A
	v_cvt_pk_bf16_f32 v134, v140, v141                         // 00000000B380: D2680086 00031B8C
	v_cvt_pk_bf16_f32 v135, v142, v143                         // 00000000B388: D2680087 00031F8E
	v_cvt_pk_bf16_f32 v136, v144, v145                         // 00000000B390: D2680088 00032390
	v_cvt_pk_bf16_f32 v137, v146, v147                         // 00000000B398: D2680089 00032792
	v_cvt_pk_bf16_f32 v138, v148, v149                         // 00000000B3A0: D268008A 00032B94
	v_cvt_pk_bf16_f32 v139, v150, v151                         // 00000000B3A8: D268008B 00032F96
	v_cvt_pk_bf16_f32 v140, v152, v153                         // 00000000B3B0: D268008C 00033398
	v_cvt_pk_bf16_f32 v141, v154, v155                         // 00000000B3B8: D268008D 0003379A
	v_cvt_pk_bf16_f32 v142, v156, v157                         // 00000000B3C0: D268008E 00033B9C
	v_cvt_pk_bf16_f32 v143, v158, v159                         // 00000000B3C8: D268008F 00033F9E
	v_cvt_pk_bf16_f32 v144, v160, v161                         // 00000000B3D0: D2680090 000343A0
	v_cvt_pk_bf16_f32 v145, v162, v163                         // 00000000B3D8: D2680091 000347A2
	v_cvt_pk_bf16_f32 v146, v164, v165                         // 00000000B3E0: D2680092 00034BA4
	v_cvt_pk_bf16_f32 v147, v166, v167                         // 00000000B3E8: D2680093 00034FA6
	v_cvt_pk_bf16_f32 v148, v168, v169                         // 00000000B3F0: D2680094 000353A8
	v_cvt_pk_bf16_f32 v149, v170, v171                         // 00000000B3F8: D2680095 000357AA
	v_cvt_pk_bf16_f32 v150, v172, v173                         // 00000000B400: D2680096 00035BAC
	v_cvt_pk_bf16_f32 v151, v174, v175                         // 00000000B408: D2680097 00035FAE
	v_cvt_pk_bf16_f32 v152, v176, v177                         // 00000000B410: D2680098 000363B0
	v_cvt_pk_bf16_f32 v153, v178, v179                         // 00000000B418: D2680099 000367B2
	v_cvt_pk_bf16_f32 v154, v180, v181                         // 00000000B420: D268009A 00036BB4
	v_cvt_pk_bf16_f32 v155, v182, v183                         // 00000000B428: D268009B 00036FB6
	v_cvt_pk_bf16_f32 v156, v184, v185                         // 00000000B430: D268009C 000373B8
	v_cvt_pk_bf16_f32 v157, v186, v187                         // 00000000B438: D268009D 000377BA
	v_cvt_pk_bf16_f32 v158, v188, v189                         // 00000000B440: D268009E 00037BBC
	v_cvt_pk_bf16_f32 v159, v190, v191                         // 00000000B448: D268009F 00037FBE
	ds_write_b64 v4, v[128:129]                                // 00000000B450: D89A0000 00008004
	ds_write_b64 v4, v[130:131] offset:8704                    // 00000000B458: D89A2200 00008204
	ds_write_b64 v5, v[132:133]                                // 00000000B460: D89A0000 00008405
	ds_write_b64 v5, v[134:135] offset:8704                    // 00000000B468: D89A2200 00008605
	ds_write_b64 v4, v[136:137] offset:2176                    // 00000000B470: D89A0880 00008804
	ds_write_b64 v4, v[138:139] offset:10880                   // 00000000B478: D89A2A80 00008A04
	ds_write_b64 v5, v[140:141] offset:2176                    // 00000000B480: D89A0880 00008C05
	ds_write_b64 v5, v[142:143] offset:10880                   // 00000000B488: D89A2A80 00008E05
	ds_write_b64 v4, v[144:145] offset:4352                    // 00000000B490: D89A1100 00009004
	ds_write_b64 v4, v[146:147] offset:13056                   // 00000000B498: D89A3300 00009204
	ds_write_b64 v5, v[148:149] offset:4352                    // 00000000B4A0: D89A1100 00009405
	ds_write_b64 v5, v[150:151] offset:13056                   // 00000000B4A8: D89A3300 00009605
	ds_write_b64 v4, v[152:153] offset:6528                    // 00000000B4B0: D89A1980 00009804
	ds_write_b64 v4, v[154:155] offset:15232                   // 00000000B4B8: D89A3B80 00009A04
	ds_write_b64 v5, v[156:157] offset:6528                    // 00000000B4C0: D89A1980 00009C05
	ds_write_b64 v5, v[158:159] offset:15232                   // 00000000B4C8: D89A3B80 00009E05
	s_waitcnt lgkmcnt(0)                                       // 00000000B4D0: BF8CC07F
	s_barrier                                                  // 00000000B4D4: BF8A0000
	ds_read_b32 v64, v6                                        // 00000000B4D8: D86C0000 40000006
	ds_read_b32 v65, v6 offset:4352                            // 00000000B4E0: D86C1100 41000006
	ds_read_b32 v66, v6 offset:8                               // 00000000B4E8: D86C0008 42000006
	ds_read_b32 v67, v6 offset:4360                            // 00000000B4F0: D86C1108 43000006
	ds_read_b32 v68, v6 offset:32                              // 00000000B4F8: D86C0020 44000006
	ds_read_b32 v69, v6 offset:4384                            // 00000000B500: D86C1120 45000006
	ds_read_b32 v70, v6 offset:40                              // 00000000B508: D86C0028 46000006
	ds_read_b32 v71, v6 offset:4392                            // 00000000B510: D86C1128 47000006
	ds_read_b32 v72, v6 offset:8704                            // 00000000B518: D86C2200 48000006
	ds_read_b32 v73, v6 offset:13056                           // 00000000B520: D86C3300 49000006
	ds_read_b32 v74, v6 offset:8712                            // 00000000B528: D86C2208 4A000006
	ds_read_b32 v75, v6 offset:13064                           // 00000000B530: D86C3308 4B000006
	ds_read_b32 v76, v6 offset:8736                            // 00000000B538: D86C2220 4C000006
	ds_read_b32 v77, v6 offset:13088                           // 00000000B540: D86C3320 4D000006
	ds_read_b32 v78, v6 offset:8744                            // 00000000B548: D86C2228 4E000006
	ds_read_b32 v79, v6 offset:13096                           // 00000000B550: D86C3328 4F000006
	ds_read_b32 v80, v7                                        // 00000000B558: D86C0000 50000007
	ds_read_b32 v81, v7 offset:4352                            // 00000000B560: D86C1100 51000007
	ds_read_b32 v82, v7 offset:8                               // 00000000B568: D86C0008 52000007
	ds_read_b32 v83, v7 offset:4360                            // 00000000B570: D86C1108 53000007
	ds_read_b32 v84, v7 offset:32                              // 00000000B578: D86C0020 54000007
	ds_read_b32 v85, v7 offset:4384                            // 00000000B580: D86C1120 55000007
	ds_read_b32 v86, v7 offset:40                              // 00000000B588: D86C0028 56000007
	ds_read_b32 v87, v7 offset:4392                            // 00000000B590: D86C1128 57000007
	ds_read_b32 v88, v7 offset:8704                            // 00000000B598: D86C2200 58000007
	ds_read_b32 v89, v7 offset:13056                           // 00000000B5A0: D86C3300 59000007
	ds_read_b32 v90, v7 offset:8712                            // 00000000B5A8: D86C2208 5A000007
	ds_read_b32 v91, v7 offset:13064                           // 00000000B5B0: D86C3308 5B000007
	ds_read_b32 v92, v7 offset:8736                            // 00000000B5B8: D86C2220 5C000007
	ds_read_b32 v93, v7 offset:13088                           // 00000000B5C0: D86C3320 5D000007
	ds_read_b32 v94, v7 offset:8744                            // 00000000B5C8: D86C2228 5E000007
	ds_read_b32 v95, v7 offset:13096                           // 00000000B5D0: D86C3328 5F000007
	s_waitcnt lgkmcnt(0)                                       // 00000000B5D8: BF8CC07F
	s_setvskip s20, 0                                          // 00000000B5DC: BF108014
	global_atomic_pk_add_bf16 v96, v64, s[8:9]                 // 00000000B5E0: DD488000 00084060
	s_setvskip 0, 0                                            // 00000000B5E8: BF108080
	s_setvskip s20, 0                                          // 00000000B5EC: BF108014
	global_atomic_pk_add_bf16 v96, v65, s[8:9] offset:256      // 00000000B5F0: DD488100 00084160
	s_setvskip 0, 0                                            // 00000000B5F8: BF108080
	s_setvskip s20, 1                                          // 00000000B5FC: BF108114
	global_atomic_pk_add_bf16 v98, v66, s[8:9]                 // 00000000B600: DD488000 00084262
	s_setvskip 0, 0                                            // 00000000B608: BF108080
	s_setvskip s20, 1                                          // 00000000B60C: BF108114
	global_atomic_pk_add_bf16 v98, v67, s[8:9] offset:256      // 00000000B610: DD488100 00084362
	s_setvskip 0, 0                                            // 00000000B618: BF108080
	s_setvskip s20, 2                                          // 00000000B61C: BF108214
	global_atomic_pk_add_bf16 v100, v68, s[8:9]                // 00000000B620: DD488000 00084464
	s_setvskip 0, 0                                            // 00000000B628: BF108080
	s_setvskip s20, 2                                          // 00000000B62C: BF108214
	global_atomic_pk_add_bf16 v100, v69, s[8:9] offset:256     // 00000000B630: DD488100 00084564
	s_setvskip 0, 0                                            // 00000000B638: BF108080
	s_setvskip s20, 3                                          // 00000000B63C: BF108314
	global_atomic_pk_add_bf16 v102, v70, s[8:9]                // 00000000B640: DD488000 00084666
	s_setvskip 0, 0                                            // 00000000B648: BF108080
	s_setvskip s20, 3                                          // 00000000B64C: BF108314
	global_atomic_pk_add_bf16 v102, v71, s[8:9] offset:256     // 00000000B650: DD488100 00084766
	s_setvskip 0, 0                                            // 00000000B658: BF108080
	s_setvskip s20, 4                                          // 00000000B65C: BF108414
	global_atomic_pk_add_bf16 v104, v72, s[8:9]                // 00000000B660: DD488000 00084868
	s_setvskip 0, 0                                            // 00000000B668: BF108080
	s_setvskip s20, 4                                          // 00000000B66C: BF108414
	global_atomic_pk_add_bf16 v104, v73, s[8:9] offset:256     // 00000000B670: DD488100 00084968
	s_setvskip 0, 0                                            // 00000000B678: BF108080
	s_setvskip s20, 5                                          // 00000000B67C: BF108514
	global_atomic_pk_add_bf16 v106, v74, s[8:9]                // 00000000B680: DD488000 00084A6A
	s_setvskip 0, 0                                            // 00000000B688: BF108080
	s_setvskip s20, 5                                          // 00000000B68C: BF108514
	global_atomic_pk_add_bf16 v106, v75, s[8:9] offset:256     // 00000000B690: DD488100 00084B6A
	s_setvskip 0, 0                                            // 00000000B698: BF108080
	s_setvskip s20, 6                                          // 00000000B69C: BF108614
	global_atomic_pk_add_bf16 v108, v76, s[8:9]                // 00000000B6A0: DD488000 00084C6C
	s_setvskip 0, 0                                            // 00000000B6A8: BF108080
	s_setvskip s20, 6                                          // 00000000B6AC: BF108614
	global_atomic_pk_add_bf16 v108, v77, s[8:9] offset:256     // 00000000B6B0: DD488100 00084D6C
	s_setvskip 0, 0                                            // 00000000B6B8: BF108080
	s_setvskip s20, 7                                          // 00000000B6BC: BF108714
	global_atomic_pk_add_bf16 v110, v78, s[8:9]                // 00000000B6C0: DD488000 00084E6E
	s_setvskip 0, 0                                            // 00000000B6C8: BF108080
	s_setvskip s20, 7                                          // 00000000B6CC: BF108714
	global_atomic_pk_add_bf16 v110, v79, s[8:9] offset:256     // 00000000B6D0: DD488100 00084F6E
	s_setvskip 0, 0                                            // 00000000B6D8: BF108080
	s_setvskip s20, 8                                          // 00000000B6DC: BF108814
	global_atomic_pk_add_bf16 v112, v80, s[8:9]                // 00000000B6E0: DD488000 00085070
	s_setvskip 0, 0                                            // 00000000B6E8: BF108080
	s_setvskip s20, 8                                          // 00000000B6EC: BF108814
	global_atomic_pk_add_bf16 v112, v81, s[8:9] offset:256     // 00000000B6F0: DD488100 00085170
	s_setvskip 0, 0                                            // 00000000B6F8: BF108080
	s_setvskip s20, 9                                          // 00000000B6FC: BF108914
	global_atomic_pk_add_bf16 v114, v82, s[8:9]                // 00000000B700: DD488000 00085272
	s_setvskip 0, 0                                            // 00000000B708: BF108080
	s_setvskip s20, 9                                          // 00000000B70C: BF108914
	global_atomic_pk_add_bf16 v114, v83, s[8:9] offset:256     // 00000000B710: DD488100 00085372
	s_setvskip 0, 0                                            // 00000000B718: BF108080
	s_setvskip s20, 10                                         // 00000000B71C: BF108A14
	global_atomic_pk_add_bf16 v116, v84, s[8:9]                // 00000000B720: DD488000 00085474
	s_setvskip 0, 0                                            // 00000000B728: BF108080
	s_setvskip s20, 10                                         // 00000000B72C: BF108A14
	global_atomic_pk_add_bf16 v116, v85, s[8:9] offset:256     // 00000000B730: DD488100 00085574
	s_setvskip 0, 0                                            // 00000000B738: BF108080
	s_setvskip s20, 11                                         // 00000000B73C: BF108B14
	global_atomic_pk_add_bf16 v118, v86, s[8:9]                // 00000000B740: DD488000 00085676
	s_setvskip 0, 0                                            // 00000000B748: BF108080
	s_setvskip s20, 11                                         // 00000000B74C: BF108B14
	global_atomic_pk_add_bf16 v118, v87, s[8:9] offset:256     // 00000000B750: DD488100 00085776
	s_setvskip 0, 0                                            // 00000000B758: BF108080
	s_setvskip s20, 12                                         // 00000000B75C: BF108C14
	global_atomic_pk_add_bf16 v120, v88, s[8:9]                // 00000000B760: DD488000 00085878
	s_setvskip 0, 0                                            // 00000000B768: BF108080
	s_setvskip s20, 12                                         // 00000000B76C: BF108C14
	global_atomic_pk_add_bf16 v120, v89, s[8:9] offset:256     // 00000000B770: DD488100 00085978
	s_setvskip 0, 0                                            // 00000000B778: BF108080
	s_setvskip s20, 13                                         // 00000000B77C: BF108D14
	global_atomic_pk_add_bf16 v122, v90, s[8:9]                // 00000000B780: DD488000 00085A7A
	s_setvskip 0, 0                                            // 00000000B788: BF108080
	s_setvskip s20, 13                                         // 00000000B78C: BF108D14
	global_atomic_pk_add_bf16 v122, v91, s[8:9] offset:256     // 00000000B790: DD488100 00085B7A
	s_setvskip 0, 0                                            // 00000000B798: BF108080
	s_setvskip s20, 14                                         // 00000000B79C: BF108E14
	global_atomic_pk_add_bf16 v124, v92, s[8:9]                // 00000000B7A0: DD488000 00085C7C
	s_setvskip 0, 0                                            // 00000000B7A8: BF108080
	s_setvskip s20, 14                                         // 00000000B7AC: BF108E14
	global_atomic_pk_add_bf16 v124, v93, s[8:9] offset:256     // 00000000B7B0: DD488100 00085D7C
	s_setvskip 0, 0                                            // 00000000B7B8: BF108080
	s_setvskip s20, 15                                         // 00000000B7BC: BF108F14
	global_atomic_pk_add_bf16 v126, v94, s[8:9]                // 00000000B7C0: DD488000 00085E7E
	s_setvskip 0, 0                                            // 00000000B7C8: BF108080
	s_setvskip s20, 15                                         // 00000000B7CC: BF108F14
	global_atomic_pk_add_bf16 v126, v95, s[8:9] offset:256     // 00000000B7D0: DD488100 00085F7E
	s_setvskip 0, 0                                            // 00000000B7D8: BF108080
	s_add_u32 s8, s55, s8                                      // 00000000B7DC: 80080837
	s_addc_u32 s9, 0, s9                                       // 00000000B7E0: 82090980
	s_addk_i32 s76, 0x100                                      // 00000000B7E4: B74C0100
	s_cmp_lt_i32 s76, s77                                      // 00000000B7E8: BF044D4C
	s_cbranch_scc0 label_14CF                                  // 00000000B7EC: BF84F253
	s_waitcnt vmcnt(12)                                        // 00000000B7F0: BF8C0F7C
	s_barrier                                                  // 00000000B7F4: BF8A0000
	v_mfma_f32_16x16x128_f8f6f4 v[192:195], a[64:71], a[128:135], 0// 00000000B7F8: D3AD00C0 1A030140
	buffer_load_dwordx4 a[0:3], v51, s[12:15], 0 offen         // 00000000B800: E05C1000 80830033
	buffer_load_dwordx4 a[4:7], v51, s[12:15], 0 offen offset:1024// 00000000B808: E05C1400 80830433
	v_mfma_f32_16x16x128_f8f6f4 v[196:199], a[64:71], a[144:151], 0// 00000000B810: D3AD00C4 1A032140
	v_mfma_f32_16x16x128_f8f6f4 v[200:203], a[64:71], a[160:167], 0// 00000000B818: D3AD00C8 1A034140
	buffer_load_dwordx4 a[8:11], v52, s[12:15], 0 offen        // 00000000B820: E05C1000 80830834
	buffer_load_dwordx4 a[12:15], v52, s[12:15], 0 offen offset:1024// 00000000B828: E05C1400 80830C34
	buffer_load_dword v37, v8, s[16:19], 0 offen               // 00000000B830: E0501000 80042508
	v_mfma_f32_16x16x128_f8f6f4 v[204:207], a[64:71], a[176:183], 0// 00000000B838: D3AD00CC 1A036140
	s_waitcnt vmcnt(13)                                        // 00000000B840: BF8C0F7D
	v_mfma_f32_16x16x128_f8f6f4 v[208:211], a[72:79], a[128:135], 0// 00000000B844: D3AD00D0 1A030148
	buffer_load_dwordx4 a[16:19], v53, s[12:15], 0 offen       // 00000000B84C: E05C1000 80831035
	buffer_load_dwordx4 a[20:23], v53, s[12:15], 0 offen offset:1024// 00000000B854: E05C1400 80831435
	v_mfma_f32_16x16x128_f8f6f4 v[212:215], a[72:79], a[144:151], 0// 00000000B85C: D3AD00D4 1A032148
	v_mfma_f32_16x16x128_f8f6f4 v[216:219], a[72:79], a[160:167], 0// 00000000B864: D3AD00D8 1A034148
	buffer_load_dwordx4 a[24:27], v54, s[12:15], 0 offen       // 00000000B86C: E05C1000 80831836
	buffer_load_dwordx4 a[28:31], v54, s[12:15], 0 offen offset:1024// 00000000B874: E05C1400 80831C36
	s_add_u32 s12, s74, s12                                    // 00000000B87C: 800C0C4A
	s_addc_u32 s13, 0, s13                                     // 00000000B880: 820D0D80
	v_mfma_f32_16x16x128_f8f6f4 v[220:223], a[72:79], a[176:183], 0// 00000000B884: D3AD00DC 1A036148
	s_waitcnt vmcnt(13)                                        // 00000000B88C: BF8C0F7D
	v_mfma_f32_16x16x128_f8f6f4 v[224:227], a[80:87], a[128:135], 0// 00000000B890: D3AD00E0 1A030150
	buffer_load_dwordx4 a[32:35], v51, s[12:15], 0 offen       // 00000000B898: E05C1000 80832033
	buffer_load_dwordx4 a[36:39], v51, s[12:15], 0 offen offset:1024// 00000000B8A0: E05C1400 80832433
	v_mfma_f32_16x16x128_f8f6f4 v[228:231], a[80:87], a[144:151], 0// 00000000B8A8: D3AD00E4 1A032150
	v_mfma_f32_16x16x128_f8f6f4 v[232:235], a[80:87], a[160:167], 0// 00000000B8B0: D3AD00E8 1A034150
	buffer_load_dwordx4 a[40:43], v52, s[12:15], 0 offen       // 00000000B8B8: E05C1000 80832834
	buffer_load_dwordx4 a[44:47], v52, s[12:15], 0 offen offset:1024// 00000000B8C0: E05C1400 80832C34
	v_mfma_f32_16x16x128_f8f6f4 v[236:239], a[80:87], a[176:183], 0// 00000000B8C8: D3AD00EC 1A036150
	s_waitcnt vmcnt(13)                                        // 00000000B8D0: BF8C0F7D
	v_mfma_f32_16x16x128_f8f6f4 v[240:243], a[88:95], a[128:135], 0// 00000000B8D4: D3AD00F0 1A030158
	buffer_load_dwordx4 a[48:51], v53, s[12:15], 0 offen       // 00000000B8DC: E05C1000 80833035
	buffer_load_dwordx4 a[52:55], v53, s[12:15], 0 offen offset:1024// 00000000B8E4: E05C1400 80833435
	v_mfma_f32_16x16x128_f8f6f4 v[244:247], a[88:95], a[144:151], 0// 00000000B8EC: D3AD00F4 1A032158
	v_mfma_f32_16x16x128_f8f6f4 v[248:251], a[88:95], a[160:167], 0// 00000000B8F4: D3AD00F8 1A034158
	buffer_load_dwordx4 a[56:59], v54, s[12:15], 0 offen       // 00000000B8FC: E05C1000 80833836
	buffer_load_dwordx4 a[60:63], v54, s[12:15], 0 offen offset:1024// 00000000B904: E05C1400 80833C36
	v_mfma_f32_16x16x128_f8f6f4 v[252:255], a[88:95], a[176:183], 0// 00000000B90C: D3AD00FC 1A036158
	v_mul_f32_dpp v60, v38, v21 row_newbcast:0 row_mask:0xf bank_mask:0xf// 00000000B914: 0A782AFA FF015026
	v_mov_b32_e32 v61, v60                                     // 00000000B91C: 7E7A033C
	v_pk_mul_f32 v[192:193], v[60:61], v[192:193]              // 00000000B920: D3B140C0 1803813C
	v_pk_mul_f32 v[194:195], v[60:61], v[194:195]              // 00000000B928: D3B140C2 1803853C
	v_pk_mul_f32 v[208:209], v[60:61], v[208:209]              // 00000000B930: D3B140D0 1803A13C
	v_pk_mul_f32 v[210:211], v[60:61], v[210:211]              // 00000000B938: D3B140D2 1803A53C
	v_mul_f32_dpp v60, v38, v21 row_newbcast:1 row_mask:0xf bank_mask:0xf// 00000000B940: 0A782AFA FF015126
	v_mov_b32_e32 v61, v60                                     // 00000000B948: 7E7A033C
	v_pk_mul_f32 v[224:225], v[60:61], v[224:225]              // 00000000B94C: D3B140E0 1803C13C
	v_pk_mul_f32 v[226:227], v[60:61], v[226:227]              // 00000000B954: D3B140E2 1803C53C
	v_pk_mul_f32 v[240:241], v[60:61], v[240:241]              // 00000000B95C: D3B140F0 1803E13C
	v_pk_mul_f32 v[242:243], v[60:61], v[242:243]              // 00000000B964: D3B140F2 1803E53C
	v_mul_f32_dpp v60, v38, v22 row_newbcast:0 row_mask:0xf bank_mask:0xf// 00000000B96C: 0A782CFA FF015026
	v_mov_b32_e32 v61, v60                                     // 00000000B974: 7E7A033C
	v_pk_mul_f32 v[196:197], v[60:61], v[196:197]              // 00000000B978: D3B140C4 1803893C
	v_pk_mul_f32 v[198:199], v[60:61], v[198:199]              // 00000000B980: D3B140C6 18038D3C
	v_pk_mul_f32 v[212:213], v[60:61], v[212:213]              // 00000000B988: D3B140D4 1803A93C
	v_pk_mul_f32 v[214:215], v[60:61], v[214:215]              // 00000000B990: D3B140D6 1803AD3C
	v_mul_f32_dpp v60, v38, v22 row_newbcast:1 row_mask:0xf bank_mask:0xf// 00000000B998: 0A782CFA FF015126
	v_mov_b32_e32 v61, v60                                     // 00000000B9A0: 7E7A033C
	v_pk_mul_f32 v[228:229], v[60:61], v[228:229]              // 00000000B9A4: D3B140E4 1803C93C
	v_pk_mul_f32 v[230:231], v[60:61], v[230:231]              // 00000000B9AC: D3B140E6 1803CD3C
	v_pk_mul_f32 v[244:245], v[60:61], v[244:245]              // 00000000B9B4: D3B140F4 1803E93C
	v_pk_mul_f32 v[246:247], v[60:61], v[246:247]              // 00000000B9BC: D3B140F6 1803ED3C
	v_mul_f32_dpp v60, v38, v23 row_newbcast:0 row_mask:0xf bank_mask:0xf// 00000000B9C4: 0A782EFA FF015026
	v_mov_b32_e32 v61, v60                                     // 00000000B9CC: 7E7A033C
	v_pk_mul_f32 v[200:201], v[60:61], v[200:201]              // 00000000B9D0: D3B140C8 1803913C
	v_pk_mul_f32 v[202:203], v[60:61], v[202:203]              // 00000000B9D8: D3B140CA 1803953C
	v_pk_mul_f32 v[216:217], v[60:61], v[216:217]              // 00000000B9E0: D3B140D8 1803B13C
	v_pk_mul_f32 v[218:219], v[60:61], v[218:219]              // 00000000B9E8: D3B140DA 1803B53C
	v_mul_f32_dpp v60, v38, v23 row_newbcast:1 row_mask:0xf bank_mask:0xf// 00000000B9F0: 0A782EFA FF015126
	v_mov_b32_e32 v61, v60                                     // 00000000B9F8: 7E7A033C
	v_pk_mul_f32 v[232:233], v[60:61], v[232:233]              // 00000000B9FC: D3B140E8 1803D13C
	v_pk_mul_f32 v[234:235], v[60:61], v[234:235]              // 00000000BA04: D3B140EA 1803D53C
	v_pk_mul_f32 v[248:249], v[60:61], v[248:249]              // 00000000BA0C: D3B140F8 1803F13C
	v_pk_mul_f32 v[250:251], v[60:61], v[250:251]              // 00000000BA14: D3B140FA 1803F53C
	v_mul_f32_dpp v60, v38, v24 row_newbcast:0 row_mask:0xf bank_mask:0xf// 00000000BA1C: 0A7830FA FF015026
	v_mov_b32_e32 v61, v60                                     // 00000000BA24: 7E7A033C
	v_pk_mul_f32 v[204:205], v[60:61], v[204:205]              // 00000000BA28: D3B140CC 1803993C
	v_pk_mul_f32 v[206:207], v[60:61], v[206:207]              // 00000000BA30: D3B140CE 18039D3C
	v_pk_mul_f32 v[220:221], v[60:61], v[220:221]              // 00000000BA38: D3B140DC 1803B93C
	v_pk_mul_f32 v[222:223], v[60:61], v[222:223]              // 00000000BA40: D3B140DE 1803BD3C
	v_mul_f32_dpp v60, v38, v24 row_newbcast:1 row_mask:0xf bank_mask:0xf// 00000000BA48: 0A7830FA FF015126
	v_mov_b32_e32 v61, v60                                     // 00000000BA50: 7E7A033C
	v_pk_mul_f32 v[236:237], v[60:61], v[236:237]              // 00000000BA54: D3B140EC 1803D93C
	v_pk_mul_f32 v[238:239], v[60:61], v[238:239]              // 00000000BA5C: D3B140EE 1803DD3C
	v_pk_mul_f32 v[252:253], v[60:61], v[252:253]              // 00000000BA64: D3B140FC 1803F93C
	v_pk_mul_f32 v[254:255], v[60:61], v[254:255]              // 00000000BA6C: D3B140FE 1803FD3C
	s_waitcnt vmcnt(13)                                        // 00000000BA74: BF8C0F7D
	v_mfma_f32_16x16x128_f8f6f4 v[128:131], a[96:103], a[136:143], 0// 00000000BA78: D3AD0080 1A031160
	v_mfma_f32_16x16x128_f8f6f4 v[132:135], a[96:103], a[152:159], 0// 00000000BA80: D3AD0084 1A033160
	v_mfma_f32_16x16x128_f8f6f4 v[136:139], a[96:103], a[168:175], 0// 00000000BA88: D3AD0088 1A035160
	v_mfma_f32_16x16x128_f8f6f4 v[140:143], a[96:103], a[184:191], 0// 00000000BA90: D3AD008C 1A037160
	s_waitcnt vmcnt(13)                                        // 00000000BA98: BF8C0F7D
	v_mfma_f32_16x16x128_f8f6f4 v[144:147], a[104:111], a[136:143], 0// 00000000BA9C: D3AD0090 1A031168
	v_mfma_f32_16x16x128_f8f6f4 v[148:151], a[104:111], a[152:159], 0// 00000000BAA4: D3AD0094 1A033168
	v_mfma_f32_16x16x128_f8f6f4 v[152:155], a[104:111], a[168:175], 0// 00000000BAAC: D3AD0098 1A035168
	v_mfma_f32_16x16x128_f8f6f4 v[156:159], a[104:111], a[184:191], 0// 00000000BAB4: D3AD009C 1A037168
	s_waitcnt vmcnt(13)                                        // 00000000BABC: BF8C0F7D
	v_mfma_f32_16x16x128_f8f6f4 v[160:163], a[112:119], a[136:143], 0// 00000000BAC0: D3AD00A0 1A031170
	v_mfma_f32_16x16x128_f8f6f4 v[164:167], a[112:119], a[152:159], 0// 00000000BAC8: D3AD00A4 1A033170
	v_mfma_f32_16x16x128_f8f6f4 v[168:171], a[112:119], a[168:175], 0// 00000000BAD0: D3AD00A8 1A035170
	v_mfma_f32_16x16x128_f8f6f4 v[172:175], a[112:119], a[184:191], 0// 00000000BAD8: D3AD00AC 1A037170
	s_waitcnt vmcnt(13)                                        // 00000000BAE0: BF8C0F7D
	v_mfma_f32_16x16x128_f8f6f4 v[176:179], a[120:127], a[136:143], 0// 00000000BAE4: D3AD00B0 1A031178
	v_mfma_f32_16x16x128_f8f6f4 v[180:183], a[120:127], a[152:159], 0// 00000000BAEC: D3AD00B4 1A033178
	v_mfma_f32_16x16x128_f8f6f4 v[184:187], a[120:127], a[168:175], 0// 00000000BAF4: D3AD00B8 1A035178
	v_mfma_f32_16x16x128_f8f6f4 v[188:191], a[120:127], a[184:191], 0// 00000000BAFC: D3AD00BC 1A037178
	v_mul_f32_dpp v60, v38, v25 row_newbcast:2 row_mask:0xf bank_mask:0xf// 00000000BB04: 0A7832FA FF015226
	v_mov_b32_e32 v61, v60                                     // 00000000BB0C: 7E7A033C
	v_pk_fma_f32 v[192:193], v[128:129], v[60:61], v[192:193]  // 00000000BB10: D3B040C0 1F027980
	v_pk_fma_f32 v[194:195], v[130:131], v[60:61], v[194:195]  // 00000000BB18: D3B040C2 1F0A7982
	v_pk_fma_f32 v[208:209], v[144:145], v[60:61], v[208:209]  // 00000000BB20: D3B040D0 1F427990
	v_pk_fma_f32 v[210:211], v[146:147], v[60:61], v[210:211]  // 00000000BB28: D3B040D2 1F4A7992
	v_mul_f32_dpp v60, v38, v25 row_newbcast:3 row_mask:0xf bank_mask:0xf// 00000000BB30: 0A7832FA FF015326
	v_mov_b32_e32 v61, v60                                     // 00000000BB38: 7E7A033C
	v_pk_fma_f32 v[224:225], v[160:161], v[60:61], v[224:225]  // 00000000BB3C: D3B040E0 1F8279A0
	v_pk_fma_f32 v[226:227], v[162:163], v[60:61], v[226:227]  // 00000000BB44: D3B040E2 1F8A79A2
	v_pk_fma_f32 v[240:241], v[176:177], v[60:61], v[240:241]  // 00000000BB4C: D3B040F0 1FC279B0
	v_pk_fma_f32 v[242:243], v[178:179], v[60:61], v[242:243]  // 00000000BB54: D3B040F2 1FCA79B2
	v_mul_f32_dpp v60, v38, v26 row_newbcast:2 row_mask:0xf bank_mask:0xf// 00000000BB5C: 0A7834FA FF015226
	v_mov_b32_e32 v61, v60                                     // 00000000BB64: 7E7A033C
	v_pk_fma_f32 v[196:197], v[132:133], v[60:61], v[196:197]  // 00000000BB68: D3B040C4 1F127984
	v_pk_fma_f32 v[198:199], v[134:135], v[60:61], v[198:199]  // 00000000BB70: D3B040C6 1F1A7986
	v_pk_fma_f32 v[212:213], v[148:149], v[60:61], v[212:213]  // 00000000BB78: D3B040D4 1F527994
	v_pk_fma_f32 v[214:215], v[150:151], v[60:61], v[214:215]  // 00000000BB80: D3B040D6 1F5A7996
	v_mul_f32_dpp v60, v38, v26 row_newbcast:3 row_mask:0xf bank_mask:0xf// 00000000BB88: 0A7834FA FF015326
	v_mov_b32_e32 v61, v60                                     // 00000000BB90: 7E7A033C
	v_pk_fma_f32 v[228:229], v[164:165], v[60:61], v[228:229]  // 00000000BB94: D3B040E4 1F9279A4
	v_pk_fma_f32 v[230:231], v[166:167], v[60:61], v[230:231]  // 00000000BB9C: D3B040E6 1F9A79A6
	v_pk_fma_f32 v[244:245], v[180:181], v[60:61], v[244:245]  // 00000000BBA4: D3B040F4 1FD279B4
	v_pk_fma_f32 v[246:247], v[182:183], v[60:61], v[246:247]  // 00000000BBAC: D3B040F6 1FDA79B6
	v_mul_f32_dpp v60, v38, v27 row_newbcast:2 row_mask:0xf bank_mask:0xf// 00000000BBB4: 0A7836FA FF015226
	v_mov_b32_e32 v61, v60                                     // 00000000BBBC: 7E7A033C
	v_pk_fma_f32 v[200:201], v[136:137], v[60:61], v[200:201]  // 00000000BBC0: D3B040C8 1F227988
	v_pk_fma_f32 v[202:203], v[138:139], v[60:61], v[202:203]  // 00000000BBC8: D3B040CA 1F2A798A
	v_pk_fma_f32 v[216:217], v[152:153], v[60:61], v[216:217]  // 00000000BBD0: D3B040D8 1F627998
	v_pk_fma_f32 v[218:219], v[154:155], v[60:61], v[218:219]  // 00000000BBD8: D3B040DA 1F6A799A
	v_mul_f32_dpp v60, v38, v27 row_newbcast:3 row_mask:0xf bank_mask:0xf// 00000000BBE0: 0A7836FA FF015326
	v_mov_b32_e32 v61, v60                                     // 00000000BBE8: 7E7A033C
	v_pk_fma_f32 v[232:233], v[168:169], v[60:61], v[232:233]  // 00000000BBEC: D3B040E8 1FA279A8
	v_pk_fma_f32 v[234:235], v[170:171], v[60:61], v[234:235]  // 00000000BBF4: D3B040EA 1FAA79AA
	v_pk_fma_f32 v[248:249], v[184:185], v[60:61], v[248:249]  // 00000000BBFC: D3B040F8 1FE279B8
	v_pk_fma_f32 v[250:251], v[186:187], v[60:61], v[250:251]  // 00000000BC04: D3B040FA 1FEA79BA
	v_mul_f32_dpp v60, v38, v28 row_newbcast:2 row_mask:0xf bank_mask:0xf// 00000000BC0C: 0A7838FA FF015226
	v_mov_b32_e32 v61, v60                                     // 00000000BC14: 7E7A033C
	v_pk_fma_f32 v[204:205], v[140:141], v[60:61], v[204:205]  // 00000000BC18: D3B040CC 1F32798C
	v_pk_fma_f32 v[206:207], v[142:143], v[60:61], v[206:207]  // 00000000BC20: D3B040CE 1F3A798E
	v_pk_fma_f32 v[220:221], v[156:157], v[60:61], v[220:221]  // 00000000BC28: D3B040DC 1F72799C
	v_pk_fma_f32 v[222:223], v[158:159], v[60:61], v[222:223]  // 00000000BC30: D3B040DE 1F7A799E
	v_mul_f32_dpp v60, v38, v28 row_newbcast:3 row_mask:0xf bank_mask:0xf// 00000000BC38: 0A7838FA FF015326
	v_mov_b32_e32 v61, v60                                     // 00000000BC40: 7E7A033C
	v_pk_fma_f32 v[236:237], v[172:173], v[60:61], v[236:237]  // 00000000BC44: D3B040EC 1FB279AC
	v_pk_fma_f32 v[238:239], v[174:175], v[60:61], v[238:239]  // 00000000BC4C: D3B040EE 1FBA79AE
	v_pk_fma_f32 v[252:253], v[188:189], v[60:61], v[252:253]  // 00000000BC54: D3B040FC 1FF279BC
	v_pk_fma_f32 v[254:255], v[190:191], v[60:61], v[254:255]  // 00000000BC5C: D3B040FE 1FFA79BE
	s_add_u32 s56, 0x200, s76                                  // 00000000BC64: 80384CFF 00000200
	s_cmp_lt_u32 s56, s77                                      // 00000000BC6C: BF0A4D38
	s_cselect_b32 s52, s52, 0                                  // 00000000BC70: 85348034
	s_cselect_b32 s74, s74, 0                                  // 00000000BC74: 854A804A
	s_cselect_b32 s75, s75, 0                                  // 00000000BC78: 854B804B
	s_add_u32 s12, s52, s12                                    // 00000000BC7C: 800C0C34
	s_addc_u32 s13, 0, s13                                     // 00000000BC80: 820D0D80
	s_add_u32 s16, s75, s16                                    // 00000000BC84: 8010104B
	s_addc_u32 s17, 0, s17                                     // 00000000BC88: 82111180
	v_mov_b32_e32 v60, v39                                     // 00000000BC8C: 7E780327
	v_mov_b32_e32 v61, v39                                     // 00000000BC90: 7E7A0327
	v_pk_mul_f32 v[192:193], v[60:61], v[192:193]              // 00000000BC94: D3B140C0 1803813C
	v_pk_mul_f32 v[194:195], v[60:61], v[194:195]              // 00000000BC9C: D3B140C2 1803853C
	v_pk_mul_f32 v[208:209], v[60:61], v[208:209]              // 00000000BCA4: D3B140D0 1803A13C
	v_pk_mul_f32 v[210:211], v[60:61], v[210:211]              // 00000000BCAC: D3B140D2 1803A53C
	v_pk_mul_f32 v[224:225], v[60:61], v[224:225]              // 00000000BCB4: D3B140E0 1803C13C
	v_pk_mul_f32 v[226:227], v[60:61], v[226:227]              // 00000000BCBC: D3B140E2 1803C53C
	v_pk_mul_f32 v[240:241], v[60:61], v[240:241]              // 00000000BCC4: D3B140F0 1803E13C
	v_pk_mul_f32 v[242:243], v[60:61], v[242:243]              // 00000000BCCC: D3B140F2 1803E53C
	v_mov_b32_e32 v60, v40                                     // 00000000BCD4: 7E780328
	v_mov_b32_e32 v61, v40                                     // 00000000BCD8: 7E7A0328
	v_pk_mul_f32 v[196:197], v[60:61], v[196:197]              // 00000000BCDC: D3B140C4 1803893C
	v_pk_mul_f32 v[198:199], v[60:61], v[198:199]              // 00000000BCE4: D3B140C6 18038D3C
	v_pk_mul_f32 v[212:213], v[60:61], v[212:213]              // 00000000BCEC: D3B140D4 1803A93C
	v_pk_mul_f32 v[214:215], v[60:61], v[214:215]              // 00000000BCF4: D3B140D6 1803AD3C
	v_pk_mul_f32 v[228:229], v[60:61], v[228:229]              // 00000000BCFC: D3B140E4 1803C93C
	v_pk_mul_f32 v[230:231], v[60:61], v[230:231]              // 00000000BD04: D3B140E6 1803CD3C
	v_pk_mul_f32 v[244:245], v[60:61], v[244:245]              // 00000000BD0C: D3B140F4 1803E93C
	v_pk_mul_f32 v[246:247], v[60:61], v[246:247]              // 00000000BD14: D3B140F6 1803ED3C
	v_mov_b32_e32 v60, v41                                     // 00000000BD1C: 7E780329
	v_mov_b32_e32 v61, v41                                     // 00000000BD20: 7E7A0329
	v_pk_mul_f32 v[200:201], v[60:61], v[200:201]              // 00000000BD24: D3B140C8 1803913C
	v_pk_mul_f32 v[202:203], v[60:61], v[202:203]              // 00000000BD2C: D3B140CA 1803953C
	v_pk_mul_f32 v[216:217], v[60:61], v[216:217]              // 00000000BD34: D3B140D8 1803B13C
	v_pk_mul_f32 v[218:219], v[60:61], v[218:219]              // 00000000BD3C: D3B140DA 1803B53C
	v_pk_mul_f32 v[232:233], v[60:61], v[232:233]              // 00000000BD44: D3B140E8 1803D13C
	v_pk_mul_f32 v[234:235], v[60:61], v[234:235]              // 00000000BD4C: D3B140EA 1803D53C
	v_pk_mul_f32 v[248:249], v[60:61], v[248:249]              // 00000000BD54: D3B140F8 1803F13C
	v_pk_mul_f32 v[250:251], v[60:61], v[250:251]              // 00000000BD5C: D3B140FA 1803F53C
	v_mov_b32_e32 v60, v42                                     // 00000000BD64: 7E78032A
	v_mov_b32_e32 v61, v42                                     // 00000000BD68: 7E7A032A
	v_pk_mul_f32 v[204:205], v[60:61], v[204:205]              // 00000000BD6C: D3B140CC 1803993C
	v_pk_mul_f32 v[206:207], v[60:61], v[206:207]              // 00000000BD74: D3B140CE 18039D3C
	v_pk_mul_f32 v[220:221], v[60:61], v[220:221]              // 00000000BD7C: D3B140DC 1803B93C
	v_pk_mul_f32 v[222:223], v[60:61], v[222:223]              // 00000000BD84: D3B140DE 1803BD3C
	v_pk_mul_f32 v[236:237], v[60:61], v[236:237]              // 00000000BD8C: D3B140EC 1803D93C
	v_pk_mul_f32 v[238:239], v[60:61], v[238:239]              // 00000000BD94: D3B140EE 1803DD3C
	v_pk_mul_f32 v[252:253], v[60:61], v[252:253]              // 00000000BD9C: D3B140FC 1803F93C
	v_pk_mul_f32 v[254:255], v[60:61], v[254:255]              // 00000000BDA4: D3B140FE 1803FD3C
	v_cvt_pk_bf16_f32 v192, v192, v193                         // 00000000BDAC: D26800C0 000383C0
	v_cvt_pk_bf16_f32 v193, v194, v195                         // 00000000BDB4: D26800C1 000387C2
	v_cvt_pk_bf16_f32 v194, v196, v197                         // 00000000BDBC: D26800C2 00038BC4
	v_cvt_pk_bf16_f32 v195, v198, v199                         // 00000000BDC4: D26800C3 00038FC6
	v_cvt_pk_bf16_f32 v196, v200, v201                         // 00000000BDCC: D26800C4 000393C8
	v_cvt_pk_bf16_f32 v197, v202, v203                         // 00000000BDD4: D26800C5 000397CA
	v_cvt_pk_bf16_f32 v198, v204, v205                         // 00000000BDDC: D26800C6 00039BCC
	v_cvt_pk_bf16_f32 v199, v206, v207                         // 00000000BDE4: D26800C7 00039FCE
	v_cvt_pk_bf16_f32 v200, v208, v209                         // 00000000BDEC: D26800C8 0003A3D0
	v_cvt_pk_bf16_f32 v201, v210, v211                         // 00000000BDF4: D26800C9 0003A7D2
	v_cvt_pk_bf16_f32 v202, v212, v213                         // 00000000BDFC: D26800CA 0003ABD4
	v_cvt_pk_bf16_f32 v203, v214, v215                         // 00000000BE04: D26800CB 0003AFD6
	v_cvt_pk_bf16_f32 v204, v216, v217                         // 00000000BE0C: D26800CC 0003B3D8
	v_cvt_pk_bf16_f32 v205, v218, v219                         // 00000000BE14: D26800CD 0003B7DA
	v_cvt_pk_bf16_f32 v206, v220, v221                         // 00000000BE1C: D26800CE 0003BBDC
	v_cvt_pk_bf16_f32 v207, v222, v223                         // 00000000BE24: D26800CF 0003BFDE
	v_cvt_pk_bf16_f32 v208, v224, v225                         // 00000000BE2C: D26800D0 0003C3E0
	v_cvt_pk_bf16_f32 v209, v226, v227                         // 00000000BE34: D26800D1 0003C7E2
	v_cvt_pk_bf16_f32 v210, v228, v229                         // 00000000BE3C: D26800D2 0003CBE4
	v_cvt_pk_bf16_f32 v211, v230, v231                         // 00000000BE44: D26800D3 0003CFE6
	v_cvt_pk_bf16_f32 v212, v232, v233                         // 00000000BE4C: D26800D4 0003D3E8
	v_cvt_pk_bf16_f32 v213, v234, v235                         // 00000000BE54: D26800D5 0003D7EA
	v_cvt_pk_bf16_f32 v214, v236, v237                         // 00000000BE5C: D26800D6 0003DBEC
	v_cvt_pk_bf16_f32 v215, v238, v239                         // 00000000BE64: D26800D7 0003DFEE
	v_cvt_pk_bf16_f32 v216, v240, v241                         // 00000000BE6C: D26800D8 0003E3F0
	v_cvt_pk_bf16_f32 v217, v242, v243                         // 00000000BE74: D26800D9 0003E7F2
	v_cvt_pk_bf16_f32 v218, v244, v245                         // 00000000BE7C: D26800DA 0003EBF4
	v_cvt_pk_bf16_f32 v219, v246, v247                         // 00000000BE84: D26800DB 0003EFF6
	v_cvt_pk_bf16_f32 v220, v248, v249                         // 00000000BE8C: D26800DC 0003F3F8
	v_cvt_pk_bf16_f32 v221, v250, v251                         // 00000000BE94: D26800DD 0003F7FA
	v_cvt_pk_bf16_f32 v222, v252, v253                         // 00000000BE9C: D26800DE 0003FBFC
	v_cvt_pk_bf16_f32 v223, v254, v255                         // 00000000BEA4: D26800DF 0003FFFE
	ds_write_b64 v4, v[192:193]                                // 00000000BEAC: D89A0000 0000C004
	ds_write_b64 v4, v[194:195] offset:8704                    // 00000000BEB4: D89A2200 0000C204
	ds_write_b64 v5, v[196:197]                                // 00000000BEBC: D89A0000 0000C405
	ds_write_b64 v5, v[198:199] offset:8704                    // 00000000BEC4: D89A2200 0000C605
	ds_write_b64 v4, v[200:201] offset:2176                    // 00000000BECC: D89A0880 0000C804
	ds_write_b64 v4, v[202:203] offset:10880                   // 00000000BED4: D89A2A80 0000CA04
	ds_write_b64 v5, v[204:205] offset:2176                    // 00000000BEDC: D89A0880 0000CC05
	ds_write_b64 v5, v[206:207] offset:10880                   // 00000000BEE4: D89A2A80 0000CE05
	ds_write_b64 v4, v[208:209] offset:4352                    // 00000000BEEC: D89A1100 0000D004
	ds_write_b64 v4, v[210:211] offset:13056                   // 00000000BEF4: D89A3300 0000D204
	ds_write_b64 v5, v[212:213] offset:4352                    // 00000000BEFC: D89A1100 0000D405
	ds_write_b64 v5, v[214:215] offset:13056                   // 00000000BF04: D89A3300 0000D605
	ds_write_b64 v4, v[216:217] offset:6528                    // 00000000BF0C: D89A1980 0000D804
	ds_write_b64 v4, v[218:219] offset:15232                   // 00000000BF14: D89A3B80 0000DA04
	ds_write_b64 v5, v[220:221] offset:6528                    // 00000000BF1C: D89A1980 0000DC05
	ds_write_b64 v5, v[222:223] offset:15232                   // 00000000BF24: D89A3B80 0000DE05
	s_waitcnt lgkmcnt(0)                                       // 00000000BF2C: BF8CC07F
	s_barrier                                                  // 00000000BF30: BF8A0000
	ds_read_b32 v64, v6                                        // 00000000BF34: D86C0000 40000006
	ds_read_b32 v65, v6 offset:4352                            // 00000000BF3C: D86C1100 41000006
	ds_read_b32 v66, v6 offset:8                               // 00000000BF44: D86C0008 42000006
	ds_read_b32 v67, v6 offset:4360                            // 00000000BF4C: D86C1108 43000006
	ds_read_b32 v68, v6 offset:32                              // 00000000BF54: D86C0020 44000006
	ds_read_b32 v69, v6 offset:4384                            // 00000000BF5C: D86C1120 45000006
	ds_read_b32 v70, v6 offset:40                              // 00000000BF64: D86C0028 46000006
	ds_read_b32 v71, v6 offset:4392                            // 00000000BF6C: D86C1128 47000006
	ds_read_b32 v72, v6 offset:8704                            // 00000000BF74: D86C2200 48000006
	ds_read_b32 v73, v6 offset:13056                           // 00000000BF7C: D86C3300 49000006
	ds_read_b32 v74, v6 offset:8712                            // 00000000BF84: D86C2208 4A000006
	ds_read_b32 v75, v6 offset:13064                           // 00000000BF8C: D86C3308 4B000006
	ds_read_b32 v76, v6 offset:8736                            // 00000000BF94: D86C2220 4C000006
	ds_read_b32 v77, v6 offset:13088                           // 00000000BF9C: D86C3320 4D000006
	ds_read_b32 v78, v6 offset:8744                            // 00000000BFA4: D86C2228 4E000006
	ds_read_b32 v79, v6 offset:13096                           // 00000000BFAC: D86C3328 4F000006
	ds_read_b32 v80, v7                                        // 00000000BFB4: D86C0000 50000007
	ds_read_b32 v81, v7 offset:4352                            // 00000000BFBC: D86C1100 51000007
	ds_read_b32 v82, v7 offset:8                               // 00000000BFC4: D86C0008 52000007
	ds_read_b32 v83, v7 offset:4360                            // 00000000BFCC: D86C1108 53000007
	ds_read_b32 v84, v7 offset:32                              // 00000000BFD4: D86C0020 54000007
	ds_read_b32 v85, v7 offset:4384                            // 00000000BFDC: D86C1120 55000007
	ds_read_b32 v86, v7 offset:40                              // 00000000BFE4: D86C0028 56000007
	ds_read_b32 v87, v7 offset:4392                            // 00000000BFEC: D86C1128 57000007
	ds_read_b32 v88, v7 offset:8704                            // 00000000BFF4: D86C2200 58000007
	ds_read_b32 v89, v7 offset:13056                           // 00000000BFFC: D86C3300 59000007
	ds_read_b32 v90, v7 offset:8712                            // 00000000C004: D86C2208 5A000007
	ds_read_b32 v91, v7 offset:13064                           // 00000000C00C: D86C3308 5B000007
	ds_read_b32 v92, v7 offset:8736                            // 00000000C014: D86C2220 5C000007
	ds_read_b32 v93, v7 offset:13088                           // 00000000C01C: D86C3320 5D000007
	ds_read_b32 v94, v7 offset:8744                            // 00000000C024: D86C2228 5E000007
	ds_read_b32 v95, v7 offset:13096                           // 00000000C02C: D86C3328 5F000007
	s_waitcnt lgkmcnt(0)                                       // 00000000C034: BF8CC07F
	s_setvskip s20, 0                                          // 00000000C038: BF108014
	global_atomic_pk_add_bf16 v96, v64, s[8:9]                 // 00000000C03C: DD488000 00084060
	s_setvskip 0, 0                                            // 00000000C044: BF108080
	s_setvskip s20, 0                                          // 00000000C048: BF108014
	global_atomic_pk_add_bf16 v96, v65, s[8:9] offset:256      // 00000000C04C: DD488100 00084160
	s_setvskip 0, 0                                            // 00000000C054: BF108080
	s_setvskip s20, 1                                          // 00000000C058: BF108114
	global_atomic_pk_add_bf16 v98, v66, s[8:9]                 // 00000000C05C: DD488000 00084262
	s_setvskip 0, 0                                            // 00000000C064: BF108080
	s_setvskip s20, 1                                          // 00000000C068: BF108114
	global_atomic_pk_add_bf16 v98, v67, s[8:9] offset:256      // 00000000C06C: DD488100 00084362
	s_setvskip 0, 0                                            // 00000000C074: BF108080
	s_setvskip s20, 2                                          // 00000000C078: BF108214
	global_atomic_pk_add_bf16 v100, v68, s[8:9]                // 00000000C07C: DD488000 00084464
	s_setvskip 0, 0                                            // 00000000C084: BF108080
	s_setvskip s20, 2                                          // 00000000C088: BF108214
	global_atomic_pk_add_bf16 v100, v69, s[8:9] offset:256     // 00000000C08C: DD488100 00084564
	s_setvskip 0, 0                                            // 00000000C094: BF108080
	s_setvskip s20, 3                                          // 00000000C098: BF108314
	global_atomic_pk_add_bf16 v102, v70, s[8:9]                // 00000000C09C: DD488000 00084666
	s_setvskip 0, 0                                            // 00000000C0A4: BF108080
	s_setvskip s20, 3                                          // 00000000C0A8: BF108314
	global_atomic_pk_add_bf16 v102, v71, s[8:9] offset:256     // 00000000C0AC: DD488100 00084766
	s_setvskip 0, 0                                            // 00000000C0B4: BF108080
	s_setvskip s20, 4                                          // 00000000C0B8: BF108414
	global_atomic_pk_add_bf16 v104, v72, s[8:9]                // 00000000C0BC: DD488000 00084868
	s_setvskip 0, 0                                            // 00000000C0C4: BF108080
	s_setvskip s20, 4                                          // 00000000C0C8: BF108414
	global_atomic_pk_add_bf16 v104, v73, s[8:9] offset:256     // 00000000C0CC: DD488100 00084968
	s_setvskip 0, 0                                            // 00000000C0D4: BF108080
	s_setvskip s20, 5                                          // 00000000C0D8: BF108514
	global_atomic_pk_add_bf16 v106, v74, s[8:9]                // 00000000C0DC: DD488000 00084A6A
	s_setvskip 0, 0                                            // 00000000C0E4: BF108080
	s_setvskip s20, 5                                          // 00000000C0E8: BF108514
	global_atomic_pk_add_bf16 v106, v75, s[8:9] offset:256     // 00000000C0EC: DD488100 00084B6A
	s_setvskip 0, 0                                            // 00000000C0F4: BF108080
	s_setvskip s20, 6                                          // 00000000C0F8: BF108614
	global_atomic_pk_add_bf16 v108, v76, s[8:9]                // 00000000C0FC: DD488000 00084C6C
	s_setvskip 0, 0                                            // 00000000C104: BF108080
	s_setvskip s20, 6                                          // 00000000C108: BF108614
	global_atomic_pk_add_bf16 v108, v77, s[8:9] offset:256     // 00000000C10C: DD488100 00084D6C
	s_setvskip 0, 0                                            // 00000000C114: BF108080
	s_setvskip s20, 7                                          // 00000000C118: BF108714
	global_atomic_pk_add_bf16 v110, v78, s[8:9]                // 00000000C11C: DD488000 00084E6E
	s_setvskip 0, 0                                            // 00000000C124: BF108080
	s_setvskip s20, 7                                          // 00000000C128: BF108714
	global_atomic_pk_add_bf16 v110, v79, s[8:9] offset:256     // 00000000C12C: DD488100 00084F6E
	s_setvskip 0, 0                                            // 00000000C134: BF108080
	s_setvskip s20, 8                                          // 00000000C138: BF108814
	global_atomic_pk_add_bf16 v112, v80, s[8:9]                // 00000000C13C: DD488000 00085070
	s_setvskip 0, 0                                            // 00000000C144: BF108080
	s_setvskip s20, 8                                          // 00000000C148: BF108814
	global_atomic_pk_add_bf16 v112, v81, s[8:9] offset:256     // 00000000C14C: DD488100 00085170
	s_setvskip 0, 0                                            // 00000000C154: BF108080
	s_setvskip s20, 9                                          // 00000000C158: BF108914
	global_atomic_pk_add_bf16 v114, v82, s[8:9]                // 00000000C15C: DD488000 00085272
	s_setvskip 0, 0                                            // 00000000C164: BF108080
	s_setvskip s20, 9                                          // 00000000C168: BF108914
	global_atomic_pk_add_bf16 v114, v83, s[8:9] offset:256     // 00000000C16C: DD488100 00085372
	s_setvskip 0, 0                                            // 00000000C174: BF108080
	s_setvskip s20, 10                                         // 00000000C178: BF108A14
	global_atomic_pk_add_bf16 v116, v84, s[8:9]                // 00000000C17C: DD488000 00085474
	s_setvskip 0, 0                                            // 00000000C184: BF108080
	s_setvskip s20, 10                                         // 00000000C188: BF108A14
	global_atomic_pk_add_bf16 v116, v85, s[8:9] offset:256     // 00000000C18C: DD488100 00085574
	s_setvskip 0, 0                                            // 00000000C194: BF108080
	s_setvskip s20, 11                                         // 00000000C198: BF108B14
	global_atomic_pk_add_bf16 v118, v86, s[8:9]                // 00000000C19C: DD488000 00085676
	s_setvskip 0, 0                                            // 00000000C1A4: BF108080
	s_setvskip s20, 11                                         // 00000000C1A8: BF108B14
	global_atomic_pk_add_bf16 v118, v87, s[8:9] offset:256     // 00000000C1AC: DD488100 00085776
	s_setvskip 0, 0                                            // 00000000C1B4: BF108080
	s_setvskip s20, 12                                         // 00000000C1B8: BF108C14
	global_atomic_pk_add_bf16 v120, v88, s[8:9]                // 00000000C1BC: DD488000 00085878
	s_setvskip 0, 0                                            // 00000000C1C4: BF108080
	s_setvskip s20, 12                                         // 00000000C1C8: BF108C14
	global_atomic_pk_add_bf16 v120, v89, s[8:9] offset:256     // 00000000C1CC: DD488100 00085978
	s_setvskip 0, 0                                            // 00000000C1D4: BF108080
	s_setvskip s20, 13                                         // 00000000C1D8: BF108D14
	global_atomic_pk_add_bf16 v122, v90, s[8:9]                // 00000000C1DC: DD488000 00085A7A
	s_setvskip 0, 0                                            // 00000000C1E4: BF108080
	s_setvskip s20, 13                                         // 00000000C1E8: BF108D14
	global_atomic_pk_add_bf16 v122, v91, s[8:9] offset:256     // 00000000C1EC: DD488100 00085B7A
	s_setvskip 0, 0                                            // 00000000C1F4: BF108080
	s_setvskip s20, 14                                         // 00000000C1F8: BF108E14
	global_atomic_pk_add_bf16 v124, v92, s[8:9]                // 00000000C1FC: DD488000 00085C7C
	s_setvskip 0, 0                                            // 00000000C204: BF108080
	s_setvskip s20, 14                                         // 00000000C208: BF108E14
	global_atomic_pk_add_bf16 v124, v93, s[8:9] offset:256     // 00000000C20C: DD488100 00085D7C
	s_setvskip 0, 0                                            // 00000000C214: BF108080
	s_setvskip s20, 15                                         // 00000000C218: BF108F14
	global_atomic_pk_add_bf16 v126, v94, s[8:9]                // 00000000C21C: DD488000 00085E7E
	s_setvskip 0, 0                                            // 00000000C224: BF108080
	s_setvskip s20, 15                                         // 00000000C228: BF108F14
	global_atomic_pk_add_bf16 v126, v95, s[8:9] offset:256     // 00000000C22C: DD488100 00085F7E
	s_setvskip 0, 0                                            // 00000000C234: BF108080
	s_add_u32 s8, s55, s8                                      // 00000000C238: 80080837
	s_addc_u32 s9, 0, s9                                       // 00000000C23C: 82090980
	s_addk_i32 s76, 0x100                                      // 00000000C240: B74C0100
	s_cmp_lt_i32 s76, s77                                      // 00000000C244: BF044D4C
	s_cbranch_scc0 label_14CF                                  // 00000000C248: BF84EFBC
	s_branch label_1FE5                                        // 00000000C24C: BF82FAD1

000000000000c250 <label_2514>:
	s_waitcnt vmcnt(0) expcnt(0) lgkmcnt(0)                    // 00000000C250: BF8C0000
	s_add_u32 s101, s101, 1                                    // 00000000C254: 80658165
	s_cmp_eq_u32 s59, 0                                        // 00000000C258: BF06803B
	s_cbranch_scc0 label_0039                                  // 00000000C25C: BF84DB21

000000000000c260 <label_2518>:
	s_waitcnt vmcnt(0) expcnt(0) lgkmcnt(0)                    // 00000000C260: BF8C0000
	s_endpgm                                                   // 00000000C264: BF810000
